;; amdgpu-corpus repo=ROCm/rocFFT kind=compiled arch=gfx1201 opt=O3
	.text
	.amdgcn_target "amdgcn-amd-amdhsa--gfx1201"
	.amdhsa_code_object_version 6
	.protected	bluestein_single_back_len165_dim1_sp_op_CI_CI ; -- Begin function bluestein_single_back_len165_dim1_sp_op_CI_CI
	.globl	bluestein_single_back_len165_dim1_sp_op_CI_CI
	.p2align	8
	.type	bluestein_single_back_len165_dim1_sp_op_CI_CI,@function
bluestein_single_back_len165_dim1_sp_op_CI_CI: ; @bluestein_single_back_len165_dim1_sp_op_CI_CI
; %bb.0:
	s_load_b128 s[12:15], s[0:1], 0x28
	v_mul_u32_u24_e32 v1, 0x1746, v0
	s_mov_b32 s2, exec_lo
	s_delay_alu instid0(VALU_DEP_1) | instskip(NEXT) | instid1(VALU_DEP_1)
	v_lshrrev_b32_e32 v1, 16, v1
	v_mad_co_u64_u32 v[80:81], null, ttmp9, 5, v[1:2]
	v_mov_b32_e32 v81, 0
	s_wait_kmcnt 0x0
	s_delay_alu instid0(VALU_DEP_1)
	v_cmpx_gt_u64_e64 s[12:13], v[80:81]
	s_cbranch_execz .LBB0_15
; %bb.1:
	s_clause 0x1
	s_load_b128 s[4:7], s[0:1], 0x18
	s_load_b64 s[12:13], s[0:1], 0x0
	v_mul_lo_u16 v1, v1, 11
	v_mul_hi_u32 v27, 0xcccccccd, v80
	s_delay_alu instid0(VALU_DEP_2) | instskip(NEXT) | instid1(VALU_DEP_2)
	v_sub_nc_u16 v26, v0, v1
	v_lshrrev_b32_e32 v27, 2, v27
	s_delay_alu instid0(VALU_DEP_2) | instskip(NEXT) | instid1(VALU_DEP_2)
	v_and_b32_e32 v109, 0xffff, v26
	v_lshl_add_u32 v27, v27, 2, v27
	s_wait_kmcnt 0x0
	s_load_b128 s[8:11], s[4:5], 0x0
	s_delay_alu instid0(VALU_DEP_1) | instskip(NEXT) | instid1(VALU_DEP_1)
	v_sub_nc_u32_e32 v27, v80, v27
	v_mul_u32_u24_e32 v27, 0xa5, v27
	s_wait_kmcnt 0x0
	v_mad_co_u64_u32 v[0:1], null, s10, v80, 0
	v_mad_co_u64_u32 v[2:3], null, s8, v109, 0
	s_mul_u64 s[2:3], s[8:9], 15
	s_delay_alu instid0(VALU_DEP_1) | instskip(SKIP_2) | instid1(VALU_DEP_2)
	v_mad_co_u64_u32 v[4:5], null, s11, v80, v[1:2]
	v_lshlrev_b32_e32 v58, 3, v109
	s_load_b64 s[10:11], s[0:1], 0x38
	v_mov_b32_e32 v1, v4
	s_delay_alu instid0(VALU_DEP_4)
	v_mad_co_u64_u32 v[5:6], null, s9, v109, v[3:4]
	s_clause 0x7
	global_load_b64 v[101:102], v58, s[12:13]
	global_load_b64 v[97:98], v58, s[12:13] offset:120
	global_load_b64 v[99:100], v58, s[12:13] offset:240
	;; [unrolled: 1-line block ×7, first 2 shown]
	v_lshlrev_b64_e32 v[0:1], 3, v[0:1]
	global_load_b64 v[87:88], v58, s[12:13] offset:960
	v_mov_b32_e32 v3, v5
	s_delay_alu instid0(VALU_DEP_1) | instskip(SKIP_3) | instid1(VALU_DEP_2)
	v_lshlrev_b64_e32 v[4:5], 3, v[2:3]
	v_add_co_u32 v2, vcc_lo, s14, v0
	v_add_co_ci_u32_e32 v3, vcc_lo, s15, v1, vcc_lo
	s_lshl_b64 s[14:15], s[2:3], 3
	v_add_co_u32 v0, vcc_lo, v2, v4
	s_wait_alu 0xfffd
	s_delay_alu instid0(VALU_DEP_2)
	v_add_co_ci_u32_e32 v1, vcc_lo, v3, v5, vcc_lo
	v_add_co_u32 v78, s2, s12, v58
	s_wait_alu 0xfffe
	v_add_co_u32 v4, vcc_lo, v0, s14
	s_wait_alu 0xfffd
	v_add_co_ci_u32_e32 v5, vcc_lo, s15, v1, vcc_lo
	global_load_b64 v[8:9], v[0:1], off
	v_add_co_u32 v6, vcc_lo, v4, s14
	s_wait_alu 0xfffd
	v_add_co_ci_u32_e32 v7, vcc_lo, s15, v5, vcc_lo
	global_load_b64 v[4:5], v[4:5], off
	v_add_co_u32 v0, vcc_lo, v6, s14
	s_wait_alu 0xfffd
	v_add_co_ci_u32_e32 v1, vcc_lo, s15, v7, vcc_lo
	s_clause 0x1
	global_load_b64 v[6:7], v[6:7], off
	global_load_b64 v[12:13], v[0:1], off
	v_add_co_u32 v10, vcc_lo, v0, s14
	s_wait_alu 0xfffd
	v_add_co_ci_u32_e32 v11, vcc_lo, s15, v1, vcc_lo
	v_lshlrev_b32_e32 v111, 3, v27
	s_delay_alu instid0(VALU_DEP_3) | instskip(SKIP_1) | instid1(VALU_DEP_3)
	v_add_co_u32 v0, vcc_lo, v10, s14
	s_wait_alu 0xfffd
	v_add_co_ci_u32_e32 v1, vcc_lo, s15, v11, vcc_lo
	global_load_b64 v[10:11], v[10:11], off
	v_add_co_u32 v14, vcc_lo, v0, s14
	s_wait_alu 0xfffd
	v_add_co_ci_u32_e32 v15, vcc_lo, s15, v1, vcc_lo
	global_load_b64 v[16:17], v[0:1], off
	;; [unrolled: 4-line block ×6, first 2 shown]
	s_clause 0x1
	global_load_b64 v[93:94], v58, s[12:13] offset:1080
	global_load_b64 v[95:96], v58, s[12:13] offset:1200
	global_load_b64 v[24:25], v[0:1], off
	v_cmp_gt_u16_e32 vcc_lo, 4, v26
	s_load_b128 s[4:7], s[6:7], 0x0
	v_add_co_ci_u32_e64 v79, null, s13, 0, s2
	s_wait_loadcnt 0xc
	v_mul_f32_e32 v26, v9, v102
	v_mul_f32_e32 v27, v8, v102
	s_wait_loadcnt 0xb
	v_dual_mul_f32 v28, v5, v98 :: v_dual_add_nc_u32 v107, v58, v111
	s_delay_alu instid0(VALU_DEP_3) | instskip(NEXT) | instid1(VALU_DEP_3)
	v_fmac_f32_e32 v26, v8, v101
	v_fma_f32 v27, v9, v101, -v27
	v_mul_f32_e32 v9, v4, v98
	v_or_b32_e32 v110, 56, v109
	v_fmac_f32_e32 v28, v4, v97
	s_wait_loadcnt 0xa
	v_mul_f32_e32 v30, v6, v100
	v_mul_f32_e32 v4, v7, v100
	s_wait_loadcnt 0x9
	v_mul_f32_e32 v8, v13, v86
	v_mul_f32_e32 v31, v12, v86
	v_fma_f32 v29, v5, v97, -v9
	v_fma_f32 v5, v7, v99, -v30
	v_fmac_f32_e32 v4, v6, v99
	v_fmac_f32_e32 v8, v12, v85
	v_fma_f32 v9, v13, v85, -v31
	ds_store_2addr_b64 v107, v[26:27], v[28:29] offset1:15
	v_or_b32_e32 v108, 0x74, v109
	s_wait_loadcnt 0x8
	v_mul_f32_e32 v7, v10, v90
	v_mul_f32_e32 v6, v11, v90
	ds_store_2addr_b64 v107, v[4:5], v[8:9] offset0:30 offset1:45
	s_wait_loadcnt 0x7
	v_mul_f32_e32 v5, v16, v92
	v_mul_f32_e32 v12, v17, v92
	v_fma_f32 v7, v11, v89, -v7
	s_wait_loadcnt 0x6
	v_mul_f32_e32 v4, v15, v82
	v_fma_f32 v13, v17, v91, -v5
	v_dual_mul_f32 v5, v14, v82 :: v_dual_fmac_f32 v12, v16, v91
	s_wait_loadcnt 0x5
	v_mul_f32_e32 v8, v21, v84
	v_dual_mul_f32 v9, v20, v84 :: v_dual_fmac_f32 v6, v10, v89
	v_fmac_f32_e32 v4, v14, v81
	v_fma_f32 v5, v15, v81, -v5
	s_wait_loadcnt 0x4
	v_mul_f32_e32 v10, v19, v88
	v_mul_f32_e32 v11, v18, v88
	v_fma_f32 v9, v21, v83, -v9
	s_wait_loadcnt 0x2
	v_mul_f32_e32 v14, v23, v94
	v_mul_f32_e32 v15, v22, v94
	s_wait_loadcnt 0x0
	v_mul_f32_e32 v17, v24, v96
	v_mul_f32_e32 v16, v25, v96
	v_fmac_f32_e32 v8, v20, v83
	v_fmac_f32_e32 v10, v18, v87
	v_fma_f32 v11, v19, v87, -v11
	v_fmac_f32_e32 v14, v22, v93
	v_fma_f32 v15, v23, v93, -v15
	;; [unrolled: 2-line block ×3, first 2 shown]
	ds_store_2addr_b64 v107, v[6:7], v[12:13] offset0:60 offset1:75
	ds_store_2addr_b64 v107, v[4:5], v[8:9] offset0:90 offset1:105
	;; [unrolled: 1-line block ×3, first 2 shown]
	ds_store_b64 v107, v[16:17] offset:1200
	s_and_saveexec_b32 s3, vcc_lo
	s_cbranch_execz .LBB0_3
; %bb.2:
	v_mad_co_u64_u32 v[0:1], null, 0xfffffba8, s8, v[0:1]
	v_mad_co_u64_u32 v[4:5], null, s8, v110, 0
	;; [unrolled: 1-line block ×3, first 2 shown]
	s_mul_i32 s2, s9, 0xfffffba8
	s_wait_alu 0xfffe
	s_sub_co_i32 s2, s2, s8
	s_wait_alu 0xfffe
	s_delay_alu instid0(VALU_DEP_3) | instskip(NEXT) | instid1(VALU_DEP_2)
	v_add_nc_u32_e32 v1, s2, v1
	v_mad_co_u64_u32 v[8:9], null, s9, v110, v[5:6]
	v_add_co_u32 v9, s2, v0, s14
	s_wait_alu 0xf1ff
	s_delay_alu instid0(VALU_DEP_3) | instskip(NEXT) | instid1(VALU_DEP_2)
	v_add_co_ci_u32_e64 v10, s2, s15, v1, s2
	v_add_co_u32 v11, s2, v9, s14
	s_wait_alu 0xf1ff
	s_delay_alu instid0(VALU_DEP_2)
	v_add_co_ci_u32_e64 v12, s2, s15, v10, s2
	v_mov_b32_e32 v5, v8
	global_load_b64 v[0:1], v[0:1], off
	global_load_b64 v[8:9], v[9:10], off
	;; [unrolled: 1-line block ×3, first 2 shown]
	v_mad_co_u64_u32 v[10:11], null, 0xf0, s8, v[11:12]
	s_wait_loadcnt 0x1
	v_mad_co_u64_u32 v[15:16], null, s9, v108, v[7:8]
	s_clause 0x2
	global_load_b64 v[16:17], v[78:79], off offset:88
	global_load_b64 v[18:19], v[78:79], off offset:208
	;; [unrolled: 1-line block ×3, first 2 shown]
	s_mulk_i32 s9, 0xf0
	s_wait_alu 0xfffe
	v_add_nc_u32_e32 v11, s9, v11
	v_mov_b32_e32 v7, v15
	s_delay_alu instid0(VALU_DEP_1)
	v_lshlrev_b64_e32 v[6:7], 3, v[6:7]
	s_wait_loadcnt 0x2
	v_mul_f32_e32 v15, v1, v17
	s_wait_loadcnt 0x1
	v_dual_mul_f32 v12, v0, v17 :: v_dual_mul_f32 v17, v9, v19
	s_wait_loadcnt 0x0
	s_delay_alu instid0(VALU_DEP_2) | instskip(SKIP_1) | instid1(VALU_DEP_3)
	v_dual_fmac_f32 v15, v0, v16 :: v_dual_mul_f32 v0, v14, v21
	v_lshlrev_b64_e32 v[4:5], 3, v[4:5]
	v_fma_f32 v16, v1, v16, -v12
	s_delay_alu instid0(VALU_DEP_3) | instskip(NEXT) | instid1(VALU_DEP_3)
	v_dual_fmac_f32 v17, v8, v18 :: v_dual_fmac_f32 v0, v13, v20
	v_add_co_u32 v4, s2, v2, v4
	s_wait_alu 0xf1ff
	s_delay_alu instid0(VALU_DEP_4) | instskip(SKIP_3) | instid1(VALU_DEP_2)
	v_add_co_ci_u32_e64 v5, s2, v3, v5, s2
	v_add_co_u32 v22, s2, v10, s14
	s_wait_alu 0xf1ff
	v_add_co_ci_u32_e64 v23, s2, s15, v11, s2
	v_add_co_u32 v24, s2, v22, s14
	s_wait_alu 0xf1ff
	s_delay_alu instid0(VALU_DEP_2)
	v_add_co_ci_u32_e64 v25, s2, s15, v23, s2
	v_add_co_u32 v2, s2, v2, v6
	s_wait_alu 0xf1ff
	v_add_co_ci_u32_e64 v3, s2, v3, v7, s2
	global_load_b64 v[10:11], v[10:11], off
	global_load_b64 v[26:27], v[78:79], off offset:568
	global_load_b64 v[4:5], v[4:5], off
	global_load_b64 v[28:29], v[78:79], off offset:448
	;; [unrolled: 2-line block ×3, first 2 shown]
	v_mad_co_u64_u32 v[6:7], null, 0xf0, s8, v[24:25]
	s_wait_loadcnt 0x2
	v_mul_f32_e32 v12, v5, v29
	s_delay_alu instid0(VALU_DEP_1) | instskip(NEXT) | instid1(VALU_DEP_1)
	v_dual_mul_f32 v1, v13, v21 :: v_dual_fmac_f32 v12, v4, v28
	v_fma_f32 v1, v14, v20, -v1
	s_wait_loadcnt 0x0
	v_mul_f32_e32 v14, v3, v31
	v_mul_f32_e32 v19, v8, v19
	;; [unrolled: 1-line block ×3, first 2 shown]
	s_delay_alu instid0(VALU_DEP_3) | instskip(NEXT) | instid1(VALU_DEP_3)
	v_dual_fmac_f32 v14, v2, v30 :: v_dual_add_nc_u32 v7, s9, v7
	v_fma_f32 v18, v9, v18, -v19
	s_delay_alu instid0(VALU_DEP_3)
	v_fmac_f32_e32 v8, v10, v26
	global_load_b64 v[22:23], v[22:23], off
	s_clause 0x1
	global_load_b64 v[32:33], v[78:79], off offset:688
	global_load_b64 v[34:35], v[78:79], off offset:808
	global_load_b64 v[24:25], v[24:25], off
	global_load_b64 v[36:37], v[6:7], off
	v_add_co_u32 v6, s2, v6, s14
	s_wait_alu 0xf1ff
	v_add_co_ci_u32_e64 v7, s2, s15, v7, s2
	global_load_b64 v[38:39], v[78:79], off offset:1048
	v_add_co_u32 v40, s2, v6, s14
	s_wait_alu 0xf1ff
	v_add_co_ci_u32_e64 v41, s2, s15, v7, s2
	global_load_b64 v[6:7], v[6:7], off
	s_clause 0x1
	global_load_b64 v[42:43], v[78:79], off offset:1168
	global_load_b64 v[44:45], v[78:79], off offset:1288
	global_load_b64 v[40:41], v[40:41], off
	ds_store_2addr_b64 v107, v[15:16], v[17:18] offset0:11 offset1:26
	v_mul_f32_e32 v15, v2, v31
	s_wait_loadcnt 0x6
	v_mul_f32_e32 v2, v25, v35
	v_dual_mul_f32 v9, v10, v27 :: v_dual_mul_f32 v10, v23, v33
	v_mul_f32_e32 v13, v4, v29
	s_delay_alu instid0(VALU_DEP_3) | instskip(NEXT) | instid1(VALU_DEP_3)
	v_fmac_f32_e32 v2, v24, v34
	v_fma_f32 v9, v11, v26, -v9
	s_delay_alu instid0(VALU_DEP_4)
	v_fmac_f32_e32 v10, v22, v32
	s_wait_loadcnt 0x4
	v_dual_mul_f32 v11, v22, v33 :: v_dual_mul_f32 v4, v37, v39
	v_fma_f32 v13, v5, v28, -v13
	s_wait_loadcnt 0x0
	v_dual_mul_f32 v16, v7, v43 :: v_dual_mul_f32 v19, v40, v45
	v_mul_f32_e32 v5, v36, v39
	v_fmac_f32_e32 v4, v36, v38
	v_fma_f32 v15, v3, v30, -v15
	s_delay_alu instid0(VALU_DEP_4) | instskip(SKIP_3) | instid1(VALU_DEP_4)
	v_dual_fmac_f32 v16, v6, v42 :: v_dual_mul_f32 v3, v24, v35
	v_dual_mul_f32 v18, v41, v45 :: v_dual_mul_f32 v17, v6, v43
	v_fma_f32 v11, v23, v32, -v11
	v_fma_f32 v5, v37, v38, -v5
	;; [unrolled: 1-line block ×3, first 2 shown]
	s_delay_alu instid0(VALU_DEP_4)
	v_fmac_f32_e32 v18, v40, v44
	v_fma_f32 v17, v7, v42, -v17
	v_fma_f32 v19, v41, v44, -v19
	ds_store_2addr_b64 v107, v[0:1], v[12:13] offset0:41 offset1:56
	ds_store_2addr_b64 v107, v[8:9], v[10:11] offset0:71 offset1:86
	ds_store_2addr_b64 v107, v[2:3], v[14:15] offset0:101 offset1:116
	ds_store_2addr_b64 v107, v[4:5], v[16:17] offset0:131 offset1:146
	ds_store_b64 v107, v[18:19] offset:1288
.LBB0_3:
	s_wait_alu 0xfffe
	s_or_b32 exec_lo, exec_lo, s3
	global_wb scope:SCOPE_SE
	s_wait_dscnt 0x0
	s_wait_kmcnt 0x0
	s_barrier_signal -1
	s_barrier_wait -1
	global_inv scope:SCOPE_SE
	ds_load_2addr_b64 v[36:39], v107 offset1:15
	ds_load_2addr_b64 v[20:23], v107 offset0:30 offset1:45
	ds_load_2addr_b64 v[4:7], v107 offset0:60 offset1:75
	ds_load_2addr_b64 v[16:19], v107 offset0:90 offset1:105
	ds_load_2addr_b64 v[32:35], v107 offset0:120 offset1:135
	ds_load_b64 v[42:43], v107 offset:1200
	s_load_b64 s[2:3], s[0:1], 0x8
	v_mov_b32_e32 v0, 0
	v_mov_b32_e32 v1, 0
                                        ; implicit-def: $vgpr8
                                        ; implicit-def: $vgpr12
                                        ; implicit-def: $vgpr40
                                        ; implicit-def: $vgpr26
                                        ; implicit-def: $vgpr30
	s_and_saveexec_b32 s0, vcc_lo
	s_cbranch_execz .LBB0_5
; %bb.4:
	ds_load_2addr_b64 v[0:3], v107 offset0:11 offset1:26
	ds_load_2addr_b64 v[28:31], v107 offset0:41 offset1:56
	ds_load_2addr_b64 v[24:27], v107 offset0:71 offset1:86
	ds_load_2addr_b64 v[8:11], v107 offset0:101 offset1:116
	ds_load_2addr_b64 v[12:15], v107 offset0:131 offset1:146
	ds_load_b64 v[40:41], v107 offset:1288
.LBB0_5:
	s_wait_alu 0xfffe
	s_or_b32 exec_lo, exec_lo, s0
	s_wait_dscnt 0x5
	v_dual_add_f32 v45, v36, v38 :: v_dual_add_f32 v46, v37, v39
	s_wait_dscnt 0x0
	v_dual_add_f32 v47, v42, v38 :: v_dual_sub_f32 v48, v39, v43
	v_sub_f32_e32 v49, v38, v42
	s_delay_alu instid0(VALU_DEP_3) | instskip(SKIP_2) | instid1(VALU_DEP_3)
	v_dual_add_f32 v45, v45, v20 :: v_dual_add_f32 v46, v46, v21
	v_add_f32_e32 v67, v34, v20
	v_dual_add_f32 v72, v10, v24 :: v_dual_add_f32 v71, v11, v25
	v_dual_add_f32 v38, v45, v22 :: v_dual_add_f32 v45, v46, v23
	v_dual_add_f32 v46, v43, v39 :: v_dual_mul_f32 v39, 0xbf0a6770, v48
	v_mul_f32_e32 v50, 0xbf0a6770, v49
	s_delay_alu instid0(VALU_DEP_3) | instskip(SKIP_2) | instid1(VALU_DEP_3)
	v_dual_add_f32 v38, v38, v4 :: v_dual_add_f32 v45, v45, v5
	v_mul_f32_e32 v53, 0xbf7d64f0, v48
	v_dual_mul_f32 v51, 0xbf68dda4, v48 :: v_dual_mul_f32 v52, 0xbf68dda4, v49
	v_dual_add_f32 v38, v38, v6 :: v_dual_add_f32 v45, v45, v7
	v_mul_f32_e32 v54, 0xbf7d64f0, v49
	v_fma_f32 v55, 0x3f575c64, v47, -v39
	v_fmamk_f32 v56, v46, 0x3f575c64, v50
	s_delay_alu instid0(VALU_DEP_4) | instskip(SKIP_2) | instid1(VALU_DEP_4)
	v_dual_add_f32 v38, v38, v16 :: v_dual_fmac_f32 v39, 0x3f575c64, v47
	v_add_f32_e32 v45, v45, v17
	v_fma_f32 v57, 0x3ed4b147, v47, -v51
	v_dual_fmamk_f32 v59, v46, 0x3ed4b147, v52 :: v_dual_add_f32 v56, v37, v56
	s_delay_alu instid0(VALU_DEP_3) | instskip(SKIP_3) | instid1(VALU_DEP_4)
	v_dual_add_f32 v38, v38, v18 :: v_dual_add_f32 v45, v45, v19
	v_fmac_f32_e32 v51, 0x3ed4b147, v47
	v_fma_f32 v52, 0x3ed4b147, v46, -v52
	v_fma_f32 v60, 0xbe11bafb, v47, -v53
	v_dual_add_f32 v38, v38, v32 :: v_dual_add_f32 v45, v45, v33
	v_add_f32_e32 v57, v36, v57
	v_add_f32_e32 v61, v36, v39
	v_fma_f32 v50, 0x3f575c64, v46, -v50
	s_delay_alu instid0(VALU_DEP_4) | instskip(SKIP_2) | instid1(VALU_DEP_4)
	v_dual_add_f32 v38, v38, v34 :: v_dual_add_f32 v45, v45, v35
	v_add_f32_e32 v55, v36, v55
	v_add_co_u32 v44, null, v109, 11
	v_add_f32_e32 v50, v37, v50
	s_delay_alu instid0(VALU_DEP_4)
	v_add_f32_e32 v38, v38, v42
	v_dual_add_f32 v42, v37, v59 :: v_dual_mul_f32 v59, 0xbf4178ce, v48
	v_dual_sub_f32 v20, v20, v34 :: v_dual_add_f32 v39, v45, v43
	v_sub_f32_e32 v65, v21, v35
	global_wb scope:SCOPE_SE
	v_fma_f32 v62, 0xbf27a4f4, v47, -v59
	v_dual_add_f32 v45, v37, v52 :: v_dual_fmamk_f32 v52, v46, 0xbe11bafb, v54
	v_add_f32_e32 v43, v36, v51
	v_fma_f32 v54, 0xbe11bafb, v46, -v54
	v_dual_add_f32 v51, v36, v60 :: v_dual_mul_f32 v60, 0xbf4178ce, v49
	v_dual_mul_f32 v48, 0xbe903f40, v48 :: v_dual_mul_f32 v49, 0xbe903f40, v49
	v_add_f32_e32 v52, v37, v52
	s_delay_alu instid0(VALU_DEP_3) | instskip(SKIP_4) | instid1(VALU_DEP_4)
	v_dual_add_f32 v54, v37, v54 :: v_dual_fmamk_f32 v63, v46, 0xbf27a4f4, v60
	v_fma_f32 v60, 0xbf27a4f4, v46, -v60
	v_fmac_f32_e32 v53, 0xbe11bafb, v47
	v_fma_f32 v64, 0xbf75a155, v47, -v48
	v_fmac_f32_e32 v48, 0xbf75a155, v47
	v_dual_fmac_f32 v59, 0xbf27a4f4, v47 :: v_dual_add_f32 v60, v37, v60
	s_delay_alu instid0(VALU_DEP_4)
	v_add_f32_e32 v53, v36, v53
	v_fma_f32 v34, 0xbf75a155, v46, -v49
	v_add_f32_e32 v64, v36, v64
	v_add_f32_e32 v62, v36, v62
	s_wait_kmcnt 0x0
	s_barrier_signal -1
	s_barrier_wait -1
	v_add_f32_e32 v34, v37, v34
	v_dual_add_f32 v63, v37, v63 :: v_dual_fmamk_f32 v66, v46, 0xbf75a155, v49
	v_dual_mul_f32 v46, 0xbf68dda4, v20 :: v_dual_add_f32 v59, v36, v59
	v_mul_f32_e32 v68, 0xbf68dda4, v65
	v_add_f32_e32 v21, v35, v21
	s_delay_alu instid0(VALU_DEP_4) | instskip(SKIP_1) | instid1(VALU_DEP_4)
	v_dual_add_f32 v47, v37, v66 :: v_dual_add_f32 v36, v36, v48
	v_mul_f32_e32 v48, 0xbf4178ce, v65
	v_fma_f32 v35, 0x3ed4b147, v67, -v68
	v_fmac_f32_e32 v68, 0x3ed4b147, v67
	v_fmamk_f32 v37, v21, 0x3ed4b147, v46
	v_fma_f32 v46, 0x3ed4b147, v21, -v46
	v_mul_f32_e32 v49, 0xbf4178ce, v20
	v_add_f32_e32 v35, v35, v55
	v_fma_f32 v55, 0xbf27a4f4, v67, -v48
	v_fmac_f32_e32 v48, 0xbf27a4f4, v67
	v_dual_add_f32 v46, v46, v50 :: v_dual_add_f32 v37, v37, v56
	v_add_f32_e32 v56, v68, v61
	s_delay_alu instid0(VALU_DEP_4) | instskip(SKIP_3) | instid1(VALU_DEP_4)
	v_dual_fmamk_f32 v50, v21, 0xbf27a4f4, v49 :: v_dual_add_f32 v55, v55, v57
	v_mul_f32_e32 v61, 0x3e903f40, v65
	v_mul_f32_e32 v57, 0x3e903f40, v20
	v_dual_add_f32 v43, v48, v43 :: v_dual_mul_f32 v48, 0x3f7d64f0, v65
	v_add_f32_e32 v42, v50, v42
	v_fma_f32 v49, 0xbf27a4f4, v21, -v49
	v_fma_f32 v50, 0xbf75a155, v67, -v61
	v_mul_f32_e32 v66, 0x3f7d64f0, v20
	v_mul_f32_e32 v20, 0x3f0a6770, v20
	global_inv scope:SCOPE_SE
	v_add_f32_e32 v45, v49, v45
	v_dual_add_f32 v49, v50, v51 :: v_dual_fmamk_f32 v50, v21, 0xbf75a155, v57
	v_dual_sub_f32 v70, v24, v10 :: v_dual_sub_f32 v115, v27, v9
	v_sub_f32_e32 v132, v26, v8
	s_delay_alu instid0(VALU_DEP_3) | instskip(NEXT) | instid1(VALU_DEP_3)
	v_dual_add_f32 v50, v50, v52 :: v_dual_fmac_f32 v61, 0xbf75a155, v67
	v_mul_f32_e32 v136, 0x3f68dda4, v115
	s_delay_alu instid0(VALU_DEP_2) | instskip(SKIP_3) | instid1(VALU_DEP_3)
	v_add_f32_e32 v52, v61, v53
	v_fma_f32 v51, 0xbf75a155, v21, -v57
	v_fma_f32 v57, 0xbe11bafb, v67, -v48
	v_fma_f32 v61, 0xbe11bafb, v21, -v66
	v_dual_fmac_f32 v48, 0xbe11bafb, v67 :: v_dual_add_f32 v51, v51, v54
	v_fmamk_f32 v54, v21, 0xbe11bafb, v66
	s_delay_alu instid0(VALU_DEP_4) | instskip(NEXT) | instid1(VALU_DEP_3)
	v_add_f32_e32 v53, v57, v62
	v_dual_mul_f32 v57, 0x3f0a6770, v65 :: v_dual_add_f32 v48, v48, v59
	s_delay_alu instid0(VALU_DEP_3) | instskip(SKIP_1) | instid1(VALU_DEP_3)
	v_dual_add_f32 v59, v61, v60 :: v_dual_add_f32 v54, v54, v63
	v_fmamk_f32 v63, v21, 0x3f575c64, v20
	v_fma_f32 v62, 0x3f575c64, v67, -v57
	v_sub_f32_e32 v60, v23, v33
	v_fma_f32 v20, 0x3f575c64, v21, -v20
	v_fmac_f32_e32 v57, 0x3f575c64, v67
	v_add_f32_e32 v47, v63, v47
	v_dual_add_f32 v61, v62, v64 :: v_dual_add_f32 v62, v32, v22
	v_sub_f32_e32 v22, v22, v32
	v_dual_mul_f32 v32, 0xbf7d64f0, v60 :: v_dual_add_f32 v21, v33, v23
	v_add_f32_e32 v20, v20, v34
	s_delay_alu instid0(VALU_DEP_3) | instskip(NEXT) | instid1(VALU_DEP_3)
	v_dual_add_f32 v36, v57, v36 :: v_dual_mul_f32 v23, 0xbf7d64f0, v22
	v_fma_f32 v33, 0xbe11bafb, v62, -v32
	v_mul_f32_e32 v34, 0x3e903f40, v60
	v_fmac_f32_e32 v32, 0xbe11bafb, v62
	s_delay_alu instid0(VALU_DEP_4) | instskip(SKIP_3) | instid1(VALU_DEP_4)
	v_dual_add_f32 v66, v12, v30 :: v_dual_fmamk_f32 v57, v21, 0xbe11bafb, v23
	v_fma_f32 v23, 0xbe11bafb, v21, -v23
	v_add_f32_e32 v33, v33, v35
	v_fma_f32 v35, 0xbf75a155, v62, -v34
	v_dual_fmac_f32 v34, 0xbf75a155, v62 :: v_dual_add_f32 v37, v57, v37
	s_delay_alu instid0(VALU_DEP_4) | instskip(SKIP_1) | instid1(VALU_DEP_3)
	v_dual_add_f32 v32, v32, v56 :: v_dual_add_f32 v23, v23, v46
	v_mul_f32_e32 v46, 0x3f68dda4, v60
	v_dual_mul_f32 v57, 0x3e903f40, v22 :: v_dual_add_f32 v34, v34, v43
	v_add_f32_e32 v35, v35, v55
	v_add_f32_e32 v67, v13, v31
	s_delay_alu instid0(VALU_DEP_4) | instskip(NEXT) | instid1(VALU_DEP_4)
	v_fma_f32 v63, 0x3ed4b147, v62, -v46
	v_fma_f32 v56, 0xbf75a155, v21, -v57
	v_fmac_f32_e32 v46, 0x3ed4b147, v62
	v_fmamk_f32 v55, v21, 0xbf75a155, v57
	v_mul_f32_e32 v57, 0x3f68dda4, v22
	v_add_f32_e32 v49, v63, v49
	s_delay_alu instid0(VALU_DEP_4) | instskip(NEXT) | instid1(VALU_DEP_3)
	v_dual_add_f32 v43, v56, v45 :: v_dual_add_f32 v46, v46, v52
	v_dual_add_f32 v42, v55, v42 :: v_dual_fmamk_f32 v45, v21, 0x3ed4b147, v57
	v_mul_f32_e32 v55, 0xbf0a6770, v60
	v_fma_f32 v56, 0x3ed4b147, v21, -v57
	s_delay_alu instid0(VALU_DEP_3) | instskip(SKIP_1) | instid1(VALU_DEP_4)
	v_dual_mul_f32 v52, 0xbf4178ce, v60 :: v_dual_add_f32 v45, v45, v50
	v_mul_f32_e32 v50, 0xbf0a6770, v22
	v_fma_f32 v57, 0x3f575c64, v62, -v55
	s_delay_alu instid0(VALU_DEP_4) | instskip(NEXT) | instid1(VALU_DEP_3)
	v_dual_add_f32 v51, v56, v51 :: v_dual_mul_f32 v22, 0xbf4178ce, v22
	v_fmamk_f32 v56, v21, 0x3f575c64, v50
	v_fma_f32 v50, 0x3f575c64, v21, -v50
	s_delay_alu instid0(VALU_DEP_4)
	v_add_f32_e32 v53, v57, v53
	v_fmac_f32_e32 v55, 0x3f575c64, v62
	v_fma_f32 v57, 0xbf27a4f4, v62, -v52
	v_add_f32_e32 v54, v56, v54
	v_add_f32_e32 v50, v50, v59
	v_dual_sub_f32 v56, v5, v19 :: v_dual_sub_f32 v59, v4, v18
	s_delay_alu instid0(VALU_DEP_4) | instskip(SKIP_2) | instid1(VALU_DEP_4)
	v_dual_add_f32 v48, v55, v48 :: v_dual_add_f32 v55, v57, v61
	v_fmac_f32_e32 v52, 0xbf27a4f4, v62
	v_dual_fmamk_f32 v57, v21, 0xbf27a4f4, v22 :: v_dual_add_f32 v4, v18, v4
	v_dual_mul_f32 v18, 0xbf4178ce, v56 :: v_dual_add_f32 v5, v19, v5
	v_fma_f32 v21, 0xbf27a4f4, v21, -v22
	s_delay_alu instid0(VALU_DEP_4) | instskip(NEXT) | instid1(VALU_DEP_4)
	v_dual_mul_f32 v19, 0xbf4178ce, v59 :: v_dual_add_f32 v36, v52, v36
	v_add_f32_e32 v22, v57, v47
	s_delay_alu instid0(VALU_DEP_4) | instskip(NEXT) | instid1(VALU_DEP_4)
	v_fma_f32 v47, 0xbf27a4f4, v4, -v18
	v_add_f32_e32 v20, v21, v20
	s_delay_alu instid0(VALU_DEP_4) | instskip(SKIP_3) | instid1(VALU_DEP_4)
	v_dual_fmamk_f32 v21, v5, 0xbf27a4f4, v19 :: v_dual_fmac_f32 v18, 0xbf27a4f4, v4
	v_mul_f32_e32 v52, 0x3f7d64f0, v56
	v_fma_f32 v19, 0xbf27a4f4, v5, -v19
	v_add_f32_e32 v33, v47, v33
	v_add_f32_e32 v21, v21, v37
	v_mul_f32_e32 v47, 0x3f7d64f0, v59
	v_fma_f32 v37, 0xbe11bafb, v4, -v52
	v_dual_add_f32 v18, v18, v32 :: v_dual_add_f32 v19, v19, v23
	v_mul_f32_e32 v23, 0xbf0a6770, v56
	v_fmac_f32_e32 v52, 0xbe11bafb, v4
	s_delay_alu instid0(VALU_DEP_4) | instskip(SKIP_4) | instid1(VALU_DEP_4)
	v_add_f32_e32 v32, v37, v35
	v_fmamk_f32 v35, v5, 0xbe11bafb, v47
	v_fma_f32 v37, 0xbe11bafb, v5, -v47
	v_fma_f32 v47, 0x3f575c64, v4, -v23
	v_dual_mul_f32 v57, 0xbf0a6770, v59 :: v_dual_add_f32 v34, v52, v34
	v_add_f32_e32 v35, v35, v42
	s_delay_alu instid0(VALU_DEP_3) | instskip(SKIP_4) | instid1(VALU_DEP_3)
	v_dual_add_f32 v37, v37, v43 :: v_dual_add_f32 v42, v47, v49
	v_fmac_f32_e32 v23, 0x3f575c64, v4
	v_mul_f32_e32 v49, 0xbe903f40, v59
	v_mul_f32_e32 v47, 0xbe903f40, v56
	v_fma_f32 v52, 0x3f575c64, v5, -v57
	v_dual_add_f32 v23, v23, v46 :: v_dual_fmamk_f32 v46, v5, 0xbf75a155, v49
	v_fmamk_f32 v43, v5, 0x3f575c64, v57
	s_delay_alu instid0(VALU_DEP_3) | instskip(NEXT) | instid1(VALU_DEP_2)
	v_dual_add_f32 v51, v52, v51 :: v_dual_mul_f32 v52, 0x3f68dda4, v56
	v_dual_add_f32 v46, v46, v54 :: v_dual_add_f32 v43, v43, v45
	v_fma_f32 v45, 0xbf75a155, v4, -v47
	v_fmac_f32_e32 v47, 0xbf75a155, v4
	s_delay_alu instid0(VALU_DEP_2) | instskip(NEXT) | instid1(VALU_DEP_2)
	v_dual_mul_f32 v54, 0x3f68dda4, v59 :: v_dual_add_f32 v45, v45, v53
	v_add_f32_e32 v47, v47, v48
	v_sub_f32_e32 v48, v7, v17
	v_fma_f32 v53, 0x3ed4b147, v4, -v52
	v_fmac_f32_e32 v52, 0x3ed4b147, v4
	v_fma_f32 v4, 0x3ed4b147, v5, -v54
	s_delay_alu instid0(VALU_DEP_4) | instskip(SKIP_1) | instid1(VALU_DEP_3)
	v_mul_f32_e32 v56, 0xbe903f40, v48
	v_fma_f32 v49, 0xbf75a155, v5, -v49
	v_add_f32_e32 v4, v4, v20
	s_delay_alu instid0(VALU_DEP_2) | instskip(SKIP_3) | instid1(VALU_DEP_3)
	v_dual_mul_f32 v20, 0x3f0a6770, v48 :: v_dual_add_f32 v49, v49, v50
	v_dual_add_f32 v50, v53, v55 :: v_dual_add_f32 v55, v16, v6
	v_dual_sub_f32 v6, v6, v16 :: v_dual_fmamk_f32 v53, v5, 0x3ed4b147, v54
	v_add_f32_e32 v5, v17, v7
	v_fma_f32 v7, 0xbf75a155, v55, -v56
	s_delay_alu instid0(VALU_DEP_3) | instskip(NEXT) | instid1(VALU_DEP_4)
	v_mul_f32_e32 v16, 0xbe903f40, v6
	v_dual_fmac_f32 v56, 0xbf75a155, v55 :: v_dual_add_f32 v17, v53, v22
	s_delay_alu instid0(VALU_DEP_3) | instskip(NEXT) | instid1(VALU_DEP_2)
	v_dual_add_f32 v22, v52, v36 :: v_dual_add_f32 v105, v7, v33
	v_dual_fmamk_f32 v7, v5, 0xbf75a155, v16 :: v_dual_add_f32 v116, v56, v18
	v_mul_f32_e32 v18, 0xbf4178ce, v48
	v_add_f32_e32 v56, v15, v29
	s_delay_alu instid0(VALU_DEP_3) | instskip(SKIP_2) | instid1(VALU_DEP_1)
	v_add_f32_e32 v106, v7, v21
	v_fma_f32 v16, 0xbf75a155, v5, -v16
	v_fma_f32 v7, 0x3f575c64, v55, -v20
	v_dual_mul_f32 v33, 0x3f0a6770, v6 :: v_dual_add_f32 v112, v7, v32
	s_delay_alu instid0(VALU_DEP_1) | instskip(SKIP_3) | instid1(VALU_DEP_4)
	v_dual_add_f32 v117, v16, v19 :: v_dual_fmamk_f32 v16, v5, 0x3f575c64, v33
	v_fma_f32 v7, 0x3f575c64, v5, -v33
	v_fmac_f32_e32 v20, 0x3f575c64, v55
	v_mul_f32_e32 v19, 0xbf4178ce, v6
	v_add_f32_e32 v113, v16, v35
	v_fma_f32 v16, 0xbf27a4f4, v55, -v18
	v_add_f32_e32 v119, v7, v37
	v_mul_f32_e32 v7, 0x3f68dda4, v48
	v_fmac_f32_e32 v18, 0xbf27a4f4, v55
	v_add_f32_e32 v118, v20, v34
	v_add_f32_e32 v120, v16, v42
	s_delay_alu instid0(VALU_DEP_4) | instskip(NEXT) | instid1(VALU_DEP_4)
	v_fma_f32 v20, 0x3ed4b147, v55, -v7
	v_dual_mul_f32 v21, 0x3f68dda4, v6 :: v_dual_add_f32 v122, v18, v23
	v_fmamk_f32 v16, v5, 0xbf27a4f4, v19
	v_fma_f32 v19, 0xbf27a4f4, v5, -v19
	s_delay_alu instid0(VALU_DEP_4)
	v_add_f32_e32 v124, v20, v45
	v_mul_f32_e32 v18, 0xbf7d64f0, v48
	v_sub_f32_e32 v48, v29, v15
	v_dual_add_f32 v121, v16, v43 :: v_dual_fmamk_f32 v16, v5, 0x3ed4b147, v21
	v_add_f32_e32 v123, v19, v51
	v_fma_f32 v19, 0x3ed4b147, v5, -v21
	v_mul_f32_e32 v6, 0xbf7d64f0, v6
	s_delay_alu instid0(VALU_DEP_4) | instskip(SKIP_1) | instid1(VALU_DEP_4)
	v_add_f32_e32 v125, v16, v46
	v_fma_f32 v16, 0xbe11bafb, v55, -v18
	v_add_f32_e32 v127, v19, v49
	v_fmac_f32_e32 v7, 0x3ed4b147, v55
	v_fmamk_f32 v20, v5, 0xbe11bafb, v6
	v_fma_f32 v5, 0xbe11bafb, v5, -v6
	v_add_f32_e32 v128, v16, v50
	v_fmac_f32_e32 v18, 0xbe11bafb, v55
	v_add_f32_e32 v126, v7, v47
	v_sub_f32_e32 v7, v3, v41
	v_dual_add_f32 v129, v20, v17 :: v_dual_sub_f32 v16, v2, v40
	v_dual_add_f32 v46, v40, v2 :: v_dual_add_f32 v49, v41, v3
	v_add_f32_e32 v131, v5, v4
	s_delay_alu instid0(VALU_DEP_4) | instskip(NEXT) | instid1(VALU_DEP_4)
	v_mul_f32_e32 v19, 0xbf4178ce, v7
	v_dual_mul_f32 v32, 0xbf0a6770, v7 :: v_dual_mul_f32 v33, 0xbf0a6770, v16
	v_dual_add_f32 v130, v18, v22 :: v_dual_mul_f32 v37, 0xbf68dda4, v16
	v_dual_mul_f32 v42, 0xbf7d64f0, v7 :: v_dual_mul_f32 v45, 0xbf7d64f0, v16
	s_delay_alu instid0(VALU_DEP_3) | instskip(SKIP_1) | instid1(VALU_DEP_4)
	v_fma_f32 v4, 0x3f575c64, v49, -v33
	v_mul_f32_e32 v21, 0xbf4178ce, v16
	v_fma_f32 v17, 0x3ed4b147, v49, -v37
	v_fmamk_f32 v6, v46, 0x3f575c64, v32
	v_fma_f32 v20, 0xbe11bafb, v49, -v45
	v_add_f32_e32 v4, v4, v1
	v_fma_f32 v22, 0xbf27a4f4, v46, -v19
	v_dual_add_f32 v17, v17, v1 :: v_dual_mul_f32 v36, 0xbf68dda4, v7
	s_delay_alu instid0(VALU_DEP_4)
	v_dual_add_f32 v5, v6, v0 :: v_dual_add_f32 v20, v20, v1
	v_fmac_f32_e32 v19, 0xbf27a4f4, v46
	v_fmamk_f32 v18, v46, 0xbe11bafb, v42
	v_fmamk_f32 v23, v49, 0xbf27a4f4, v21
	;; [unrolled: 1-line block ×3, first 2 shown]
	v_mul_f32_e32 v7, 0xbe903f40, v7
	v_add_f32_e32 v19, v19, v0
	s_delay_alu instid0(VALU_DEP_4) | instskip(NEXT) | instid1(VALU_DEP_4)
	v_dual_add_f32 v18, v18, v0 :: v_dual_add_f32 v23, v23, v1
	v_add_f32_e32 v6, v6, v0
	s_delay_alu instid0(VALU_DEP_4) | instskip(SKIP_3) | instid1(VALU_DEP_4)
	v_fma_f32 v34, 0xbf75a155, v46, -v7
	v_add_f32_e32 v55, v14, v28
	v_fma_f32 v21, 0xbf27a4f4, v49, -v21
	v_add_f32_e32 v22, v22, v0
	v_add_f32_e32 v43, v34, v0
	s_delay_alu instid0(VALU_DEP_3) | instskip(NEXT) | instid1(VALU_DEP_1)
	v_dual_mul_f32 v34, 0xbf68dda4, v48 :: v_dual_add_f32 v21, v21, v1
	v_fmamk_f32 v50, v55, 0x3ed4b147, v34
	s_delay_alu instid0(VALU_DEP_1) | instskip(NEXT) | instid1(VALU_DEP_1)
	v_dual_mul_f32 v16, 0xbe903f40, v16 :: v_dual_add_f32 v5, v50, v5
	v_dual_sub_f32 v52, v28, v14 :: v_dual_fmamk_f32 v47, v49, 0xbf75a155, v16
	v_fma_f32 v16, 0xbf75a155, v49, -v16
	v_fmac_f32_e32 v7, 0xbf75a155, v46
	s_delay_alu instid0(VALU_DEP_3) | instskip(SKIP_3) | instid1(VALU_DEP_4)
	v_dual_mul_f32 v35, 0xbf68dda4, v52 :: v_dual_add_f32 v54, v47, v1
	v_mul_f32_e32 v59, 0x3f7d64f0, v48
	v_mul_f32_e32 v63, 0x3f7d64f0, v52
	;; [unrolled: 1-line block ×3, first 2 shown]
	v_fma_f32 v51, 0x3ed4b147, v56, -v35
	v_add_f32_e32 v16, v16, v1
	v_fma_f32 v62, 0xbe11bafb, v55, -v59
	v_mul_f32_e32 v53, 0x3e903f40, v52
	s_delay_alu instid0(VALU_DEP_4) | instskip(NEXT) | instid1(VALU_DEP_3)
	v_dual_fmac_f32 v59, 0xbe11bafb, v55 :: v_dual_add_f32 v4, v51, v4
	v_dual_mul_f32 v51, 0x3e903f40, v48 :: v_dual_add_f32 v22, v62, v22
	v_mul_f32_e32 v50, 0xbf4178ce, v52
	s_delay_alu instid0(VALU_DEP_2) | instskip(NEXT) | instid1(VALU_DEP_1)
	v_fmamk_f32 v60, v55, 0xbf75a155, v51
	v_dual_add_f32 v7, v7, v0 :: v_dual_add_f32 v18, v60, v18
	v_mul_f32_e32 v60, 0x3f0a6770, v48
	v_mul_f32_e32 v48, 0x3f0a6770, v52
	v_fma_f32 v52, 0xbe11bafb, v56, -v63
	s_delay_alu instid0(VALU_DEP_1) | instskip(SKIP_2) | instid1(VALU_DEP_1)
	v_add_f32_e32 v21, v52, v21
	v_sub_f32_e32 v52, v31, v13
	v_fma_f32 v61, 0xbf75a155, v56, -v53
	v_dual_fmamk_f32 v57, v55, 0xbf27a4f4, v47 :: v_dual_add_f32 v20, v61, v20
	s_delay_alu instid0(VALU_DEP_1) | instskip(NEXT) | instid1(VALU_DEP_1)
	v_dual_fmamk_f32 v61, v56, 0x3f575c64, v48 :: v_dual_add_f32 v6, v57, v6
	v_add_f32_e32 v64, v61, v54
	v_dual_sub_f32 v54, v30, v12 :: v_dual_add_f32 v19, v59, v19
	v_fma_f32 v57, 0xbf27a4f4, v56, -v50
	v_fma_f32 v59, 0x3f575c64, v56, -v48
	s_delay_alu instid0(VALU_DEP_3) | instskip(NEXT) | instid1(VALU_DEP_3)
	v_mul_f32_e32 v48, 0xbf7d64f0, v54
	v_dual_mul_f32 v62, 0x3f68dda4, v54 :: v_dual_add_f32 v17, v57, v17
	s_delay_alu instid0(VALU_DEP_3) | instskip(NEXT) | instid1(VALU_DEP_2)
	v_dual_add_f32 v16, v59, v16 :: v_dual_fmamk_f32 v57, v56, 0xbe11bafb, v63
	v_fma_f32 v69, 0x3ed4b147, v67, -v62
	v_mul_f32_e32 v59, 0x3e903f40, v54
	s_delay_alu instid0(VALU_DEP_3) | instskip(SKIP_1) | instid1(VALU_DEP_4)
	v_add_f32_e32 v23, v57, v23
	v_fma_f32 v57, 0x3f575c64, v55, -v60
	v_add_f32_e32 v20, v69, v20
	s_delay_alu instid0(VALU_DEP_2) | instskip(SKIP_2) | instid1(VALU_DEP_2)
	v_add_f32_e32 v63, v57, v43
	v_mul_f32_e32 v43, 0xbf7d64f0, v52
	v_mul_f32_e32 v57, 0x3e903f40, v52
	v_fmamk_f32 v61, v66, 0xbe11bafb, v43
	v_fmac_f32_e32 v60, 0x3f575c64, v55
	s_delay_alu instid0(VALU_DEP_3) | instskip(NEXT) | instid1(VALU_DEP_3)
	v_fmamk_f32 v65, v66, 0xbf75a155, v57
	v_add_f32_e32 v5, v61, v5
	s_delay_alu instid0(VALU_DEP_3) | instskip(SKIP_1) | instid1(VALU_DEP_4)
	v_add_f32_e32 v7, v60, v7
	v_fma_f32 v60, 0xbe11bafb, v67, -v48
	v_dual_mul_f32 v61, 0x3f68dda4, v52 :: v_dual_add_f32 v6, v65, v6
	s_delay_alu instid0(VALU_DEP_2) | instskip(SKIP_1) | instid1(VALU_DEP_3)
	v_add_f32_e32 v4, v60, v4
	v_fma_f32 v60, 0xbf75a155, v67, -v59
	v_fmamk_f32 v65, v66, 0x3ed4b147, v61
	s_delay_alu instid0(VALU_DEP_2) | instskip(SKIP_1) | instid1(VALU_DEP_3)
	v_dual_mul_f32 v68, 0xbf0a6770, v52 :: v_dual_add_f32 v17, v60, v17
	v_mul_f32_e32 v60, 0xbf0a6770, v54
	v_add_f32_e32 v18, v65, v18
	s_delay_alu instid0(VALU_DEP_3) | instskip(SKIP_3) | instid1(VALU_DEP_4)
	v_fma_f32 v65, 0x3f575c64, v66, -v68
	v_mul_f32_e32 v69, 0xbf4178ce, v52
	v_fmac_f32_e32 v68, 0x3f575c64, v66
	v_fmamk_f32 v52, v67, 0x3f575c64, v60
	v_add_f32_e32 v22, v65, v22
	s_delay_alu instid0(VALU_DEP_4) | instskip(NEXT) | instid1(VALU_DEP_4)
	v_fma_f32 v65, 0xbf27a4f4, v66, -v69
	v_add_f32_e32 v19, v68, v19
	s_delay_alu instid0(VALU_DEP_4) | instskip(SKIP_1) | instid1(VALU_DEP_4)
	v_add_f32_e32 v23, v52, v23
	v_fma_f32 v60, 0x3f575c64, v67, -v60
	v_dual_mul_f32 v68, 0xbf4178ce, v54 :: v_dual_add_f32 v63, v65, v63
	v_sub_f32_e32 v65, v25, v11
	s_delay_alu instid0(VALU_DEP_2) | instskip(SKIP_2) | instid1(VALU_DEP_3)
	v_dual_add_f32 v21, v60, v21 :: v_dual_fmamk_f32 v60, v67, 0xbf27a4f4, v68
	v_fma_f32 v68, 0xbf27a4f4, v67, -v68
	v_fmac_f32_e32 v69, 0xbf27a4f4, v66
	v_dual_mul_f32 v75, 0xbe903f40, v65 :: v_dual_add_f32 v64, v60, v64
	s_delay_alu instid0(VALU_DEP_3) | instskip(NEXT) | instid1(VALU_DEP_3)
	v_add_f32_e32 v16, v68, v16
	v_dual_mul_f32 v52, 0xbf4178ce, v65 :: v_dual_add_f32 v7, v69, v7
	v_mul_f32_e32 v68, 0x3f7d64f0, v70
	v_mul_f32_e32 v60, 0x3f7d64f0, v65
	;; [unrolled: 1-line block ×3, first 2 shown]
	s_delay_alu instid0(VALU_DEP_4) | instskip(SKIP_2) | instid1(VALU_DEP_3)
	v_fmamk_f32 v73, v72, 0xbf27a4f4, v52
	v_mul_f32_e32 v54, 0xbf4178ce, v70
	v_fma_f32 v76, 0xbe11bafb, v71, -v68
	v_add_f32_e32 v5, v73, v5
	v_mul_f32_e32 v73, 0xbf0a6770, v70
	s_delay_alu instid0(VALU_DEP_3) | instskip(SKIP_2) | instid1(VALU_DEP_4)
	v_dual_add_f32 v17, v76, v17 :: v_dual_mul_f32 v76, 0xbe903f40, v70
	v_fma_f32 v103, 0xbf75a155, v72, -v75
	v_fma_f32 v74, 0xbf27a4f4, v71, -v54
	;; [unrolled: 1-line block ×3, first 2 shown]
	v_fmac_f32_e32 v75, 0xbf75a155, v72
	v_mul_f32_e32 v70, 0x3f68dda4, v70
	v_add_f32_e32 v22, v103, v22
	v_add_f32_e32 v4, v74, v4
	v_dual_add_f32 v20, v77, v20 :: v_dual_mul_f32 v77, 0x3f68dda4, v65
	v_fmamk_f32 v65, v71, 0xbf75a155, v76
	v_add_f32_e32 v19, v75, v19
	s_delay_alu instid0(VALU_DEP_2) | instskip(NEXT) | instid1(VALU_DEP_1)
	v_dual_add_f32 v23, v65, v23 :: v_dual_fmamk_f32 v74, v72, 0xbe11bafb, v60
	v_add_f32_e32 v6, v74, v6
	v_fmamk_f32 v74, v72, 0x3f575c64, v69
	s_delay_alu instid0(VALU_DEP_1) | instskip(SKIP_3) | instid1(VALU_DEP_3)
	v_add_f32_e32 v18, v74, v18
	v_fma_f32 v74, 0xbf75a155, v71, -v76
	v_fma_f32 v76, 0x3ed4b147, v72, -v77
	v_fmac_f32_e32 v77, 0x3ed4b147, v72
	v_add_f32_e32 v21, v74, v21
	s_delay_alu instid0(VALU_DEP_3)
	v_dual_fmamk_f32 v65, v71, 0x3ed4b147, v70 :: v_dual_add_f32 v114, v76, v63
	v_add_f32_e32 v76, v8, v26
	v_add_f32_e32 v74, v9, v27
	v_mul_f32_e32 v63, 0xbe903f40, v115
	v_fma_f32 v70, 0x3ed4b147, v71, -v70
	v_add_f32_e32 v133, v65, v64
	v_add_f32_e32 v134, v77, v7
	v_fma_f32 v138, 0x3ed4b147, v76, -v136
	v_fmamk_f32 v75, v76, 0xbf75a155, v63
	v_mul_f32_e32 v64, 0xbe903f40, v132
	v_add_f32_e32 v135, v70, v16
	v_mul_f32_e32 v70, 0x3f0a6770, v132
	s_delay_alu instid0(VALU_DEP_4) | instskip(NEXT) | instid1(VALU_DEP_4)
	v_dual_fmac_f32 v136, 0x3ed4b147, v76 :: v_dual_add_f32 v103, v75, v5
	v_fma_f32 v104, 0xbf75a155, v74, -v64
	v_mul_f32_e32 v65, 0x3f0a6770, v115
	v_mul_f32_e32 v75, 0xbf4178ce, v115
	;; [unrolled: 1-line block ×3, first 2 shown]
	s_delay_alu instid0(VALU_DEP_4) | instskip(SKIP_1) | instid1(VALU_DEP_4)
	v_add_f32_e32 v104, v104, v4
	v_fma_f32 v4, 0x3f575c64, v74, -v70
	v_fmamk_f32 v5, v76, 0xbf27a4f4, v75
	v_fmamk_f32 v7, v76, 0x3f575c64, v65
	v_fma_f32 v16, 0xbf27a4f4, v74, -v77
	s_delay_alu instid0(VALU_DEP_2) | instskip(NEXT) | instid1(VALU_DEP_2)
	v_dual_add_f32 v6, v7, v6 :: v_dual_add_f32 v7, v4, v17
	v_dual_add_f32 v4, v5, v18 :: v_dual_add_f32 v5, v16, v20
	v_mul_f32_e32 v20, 0xbf7d64f0, v115
	v_add_f32_e32 v16, v138, v22
	v_dual_add_f32 v22, v136, v19 :: v_dual_mul_f32 v115, 0xbf7d64f0, v132
	s_delay_alu instid0(VALU_DEP_3) | instskip(SKIP_1) | instid1(VALU_DEP_1)
	v_fma_f32 v19, 0xbe11bafb, v76, -v20
	v_fmac_f32_e32 v20, 0xbe11bafb, v76
	v_dual_mul_f32 v137, 0x3f68dda4, v132 :: v_dual_add_f32 v20, v20, v134
	s_delay_alu instid0(VALU_DEP_1) | instskip(SKIP_1) | instid1(VALU_DEP_2)
	v_fmamk_f32 v17, v74, 0x3ed4b147, v137
	v_fma_f32 v18, 0x3ed4b147, v74, -v137
	v_add_f32_e32 v17, v17, v23
	s_delay_alu instid0(VALU_DEP_2) | instskip(SKIP_3) | instid1(VALU_DEP_3)
	v_add_f32_e32 v23, v18, v21
	v_mul_lo_u16 v18, v109, 11
	v_fmamk_f32 v21, v74, 0xbe11bafb, v115
	v_fma_f32 v115, 0xbe11bafb, v74, -v115
	v_and_b32_e32 v132, 0xffff, v18
	s_delay_alu instid0(VALU_DEP_3) | instskip(NEXT) | instid1(VALU_DEP_3)
	v_dual_add_f32 v18, v19, v114 :: v_dual_add_f32 v19, v21, v133
	v_add_f32_e32 v21, v115, v135
	s_delay_alu instid0(VALU_DEP_3)
	v_lshl_add_u32 v115, v132, 3, v111
	ds_store_2addr_b64 v115, v[38:39], v[105:106] offset1:1
	ds_store_2addr_b64 v115, v[112:113], v[120:121] offset0:2 offset1:3
	v_mul_u32_u24_e32 v113, 11, v44
	ds_store_2addr_b64 v115, v[124:125], v[128:129] offset0:4 offset1:5
	ds_store_2addr_b64 v115, v[130:131], v[126:127] offset0:6 offset1:7
	;; [unrolled: 1-line block ×3, first 2 shown]
	ds_store_b64 v115, v[116:117] offset:80
	s_and_saveexec_b32 s0, vcc_lo
	s_cbranch_execz .LBB0_7
; %bb.6:
	v_dual_mul_f32 v38, 0x3f575c64, v46 :: v_dual_mul_f32 v39, 0x3f575c64, v49
	v_dual_mul_f32 v105, 0x3ed4b147, v46 :: v_dual_mul_f32 v106, 0x3ed4b147, v49
	v_dual_mul_f32 v46, 0xbe11bafb, v46 :: v_dual_mul_f32 v49, 0xbe11bafb, v49
	v_mul_f32_e32 v112, 0x3ed4b147, v55
	v_mul_f32_e32 v114, 0x3ed4b147, v56
	v_dual_mul_f32 v116, 0xbf27a4f4, v55 :: v_dual_mul_f32 v117, 0xbf27a4f4, v56
	v_dual_mul_f32 v55, 0xbf75a155, v55 :: v_dual_mul_f32 v56, 0xbf75a155, v56
	v_dual_add_f32 v45, v45, v49 :: v_dual_mul_f32 v118, 0xbe11bafb, v66
	v_mul_f32_e32 v119, 0xbe11bafb, v67
	v_dual_mul_f32 v120, 0xbf75a155, v66 :: v_dual_mul_f32 v121, 0xbf75a155, v67
	s_delay_alu instid0(VALU_DEP_3)
	v_dual_mul_f32 v66, 0x3ed4b147, v66 :: v_dual_add_f32 v45, v45, v1
	v_mul_f32_e32 v67, 0x3ed4b147, v67
	v_dual_add_f32 v53, v53, v56 :: v_dual_mul_f32 v56, 0x3f575c64, v71
	v_dual_sub_f32 v42, v46, v42 :: v_dual_sub_f32 v51, v55, v51
	v_dual_mul_f32 v122, 0xbf27a4f4, v72 :: v_dual_mul_f32 v49, 0xbf27a4f4, v71
	v_dual_mul_f32 v123, 0xbe11bafb, v72 :: v_dual_mul_f32 v124, 0xbe11bafb, v71
	s_delay_alu instid0(VALU_DEP_4) | instskip(SKIP_3) | instid1(VALU_DEP_3)
	v_dual_mul_f32 v72, 0x3f575c64, v72 :: v_dual_add_f32 v45, v53, v45
	v_dual_add_f32 v53, v62, v67 :: v_dual_mul_f32 v62, 0x3f575c64, v74
	v_dual_add_f32 v42, v42, v0 :: v_dual_add_f32 v37, v37, v106
	v_add_f32_e32 v50, v50, v117
	v_add_f32_e32 v45, v53, v45
	s_delay_alu instid0(VALU_DEP_3) | instskip(SKIP_4) | instid1(VALU_DEP_4)
	v_dual_mul_f32 v55, 0x3f575c64, v76 :: v_dual_add_f32 v42, v51, v42
	v_sub_f32_e32 v51, v66, v61
	v_add_f32_e32 v53, v73, v56
	v_dual_mul_f32 v56, 0xbf27a4f4, v76 :: v_dual_mul_f32 v61, 0xbf27a4f4, v74
	v_sub_f32_e32 v36, v105, v36
	v_dual_add_f32 v42, v51, v42 :: v_dual_sub_f32 v51, v72, v69
	s_delay_alu instid0(VALU_DEP_4) | instskip(SKIP_1) | instid1(VALU_DEP_3)
	v_dual_add_f32 v2, v2, v0 :: v_dual_add_f32 v45, v53, v45
	v_dual_mul_f32 v46, 0xbf75a155, v76 :: v_dual_mul_f32 v71, 0xbf75a155, v74
	v_dual_add_f32 v42, v51, v42 :: v_dual_sub_f32 v51, v56, v75
	v_add_f32_e32 v37, v37, v1
	v_dual_add_f32 v56, v59, v121 :: v_dual_add_f32 v59, v36, v0
	v_add_f32_e32 v28, v28, v2
	s_delay_alu instid0(VALU_DEP_4) | instskip(NEXT) | instid1(VALU_DEP_4)
	v_add_f32_e32 v36, v51, v42
	v_add_f32_e32 v50, v50, v37
	;; [unrolled: 1-line block ×3, first 2 shown]
	s_delay_alu instid0(VALU_DEP_4) | instskip(SKIP_1) | instid1(VALU_DEP_3)
	v_dual_add_f32 v33, v33, v39 :: v_dual_add_f32 v28, v30, v28
	v_sub_f32_e32 v30, v38, v32
	v_dual_add_f32 v42, v56, v50 :: v_dual_add_f32 v37, v53, v45
	v_add_f32_e32 v45, v68, v124
	s_delay_alu instid0(VALU_DEP_4) | instskip(SKIP_3) | instid1(VALU_DEP_4)
	v_add_f32_e32 v24, v24, v28
	v_sub_f32_e32 v50, v120, v57
	v_add_f32_e32 v0, v30, v0
	v_sub_f32_e32 v28, v112, v34
	v_add_f32_e32 v24, v26, v24
	s_delay_alu instid0(VALU_DEP_2) | instskip(NEXT) | instid1(VALU_DEP_2)
	v_add_f32_e32 v0, v28, v0
	v_add_f32_e32 v8, v8, v24
	v_dual_add_f32 v24, v54, v49 :: v_dual_sub_f32 v47, v116, v47
	v_add_f32_e32 v42, v45, v42
	v_add_f32_e32 v45, v70, v62
	s_delay_alu instid0(VALU_DEP_4) | instskip(NEXT) | instid1(VALU_DEP_4)
	v_dual_add_f32 v3, v3, v1 :: v_dual_add_f32 v8, v10, v8
	v_add_f32_e32 v47, v47, v59
	v_add_f32_e32 v10, v64, v71
	s_delay_alu instid0(VALU_DEP_4) | instskip(NEXT) | instid1(VALU_DEP_4)
	v_add_f32_e32 v2, v45, v42
	v_add_f32_e32 v3, v29, v3
	v_sub_f32_e32 v29, v123, v60
	v_dual_add_f32 v47, v50, v47 :: v_dual_add_f32 v8, v12, v8
	v_add_f32_e32 v1, v33, v1
	s_delay_alu instid0(VALU_DEP_4) | instskip(NEXT) | instid1(VALU_DEP_3)
	v_add_f32_e32 v3, v31, v3
	v_dual_add_f32 v29, v29, v47 :: v_dual_add_f32 v12, v14, v8
	s_delay_alu instid0(VALU_DEP_2) | instskip(SKIP_1) | instid1(VALU_DEP_2)
	v_add_f32_e32 v3, v25, v3
	v_add_f32_e32 v25, v35, v114
	;; [unrolled: 1-line block ×3, first 2 shown]
	s_delay_alu instid0(VALU_DEP_2) | instskip(NEXT) | instid1(VALU_DEP_2)
	v_add_f32_e32 v1, v25, v1
	v_add_f32_e32 v3, v9, v3
	v_sub_f32_e32 v9, v118, v43
	s_delay_alu instid0(VALU_DEP_1) | instskip(SKIP_3) | instid1(VALU_DEP_4)
	v_dual_add_f32 v3, v11, v3 :: v_dual_add_f32 v0, v9, v0
	v_sub_f32_e32 v9, v122, v52
	v_add_f32_e32 v25, v48, v119
	v_sub_f32_e32 v11, v46, v63
	v_add_f32_e32 v3, v13, v3
	s_delay_alu instid0(VALU_DEP_4) | instskip(NEXT) | instid1(VALU_DEP_4)
	v_dual_sub_f32 v13, v55, v65 :: v_dual_add_f32 v0, v9, v0
	v_add_f32_e32 v1, v25, v1
	s_delay_alu instid0(VALU_DEP_3) | instskip(NEXT) | instid1(VALU_DEP_2)
	v_add_f32_e32 v3, v15, v3
	v_dual_add_f32 v8, v11, v0 :: v_dual_add_f32 v1, v24, v1
	v_lshl_add_u32 v0, v113, 3, v111
	s_delay_alu instid0(VALU_DEP_3) | instskip(NEXT) | instid1(VALU_DEP_3)
	v_add_f32_e32 v11, v41, v3
	v_dual_add_f32 v9, v10, v1 :: v_dual_add_f32 v10, v40, v12
	v_add_f32_e32 v1, v13, v29
	ds_store_2addr_b64 v0, v[10:11], v[8:9] offset1:1
	ds_store_2addr_b64 v0, v[1:2], v[36:37] offset0:2 offset1:3
	ds_store_2addr_b64 v0, v[16:17], v[18:19] offset0:4 offset1:5
	;; [unrolled: 1-line block ×4, first 2 shown]
	ds_store_b64 v0, v[103:104] offset:80
.LBB0_7:
	s_wait_alu 0xfffe
	s_or_b32 exec_lo, exec_lo, s0
	v_lshlrev_b32_e32 v47, 5, v109
	v_add_co_u32 v48, null, v109, 22
	global_wb scope:SCOPE_SE
	s_wait_dscnt 0x0
	s_barrier_signal -1
	s_barrier_wait -1
	global_inv scope:SCOPE_SE
	s_clause 0x1
	global_load_b128 v[12:15], v47, s[2:3]
	global_load_b128 v[0:3], v47, s[2:3] offset:16
	v_and_b32_e32 v8, 0xff, v48
	s_delay_alu instid0(VALU_DEP_1) | instskip(NEXT) | instid1(VALU_DEP_1)
	v_mul_lo_u16 v8, 0x75, v8
	v_lshrrev_b16 v8, 8, v8
	s_delay_alu instid0(VALU_DEP_1) | instskip(NEXT) | instid1(VALU_DEP_1)
	v_sub_nc_u16 v9, v48, v8
	v_lshrrev_b16 v9, 1, v9
	s_delay_alu instid0(VALU_DEP_1) | instskip(NEXT) | instid1(VALU_DEP_1)
	v_and_b32_e32 v9, 0x7f, v9
	v_add_nc_u16 v8, v9, v8
	s_delay_alu instid0(VALU_DEP_1) | instskip(NEXT) | instid1(VALU_DEP_1)
	v_lshrrev_b16 v8, 3, v8
	v_mul_lo_u16 v8, v8, 11
	s_delay_alu instid0(VALU_DEP_1) | instskip(NEXT) | instid1(VALU_DEP_1)
	v_sub_nc_u16 v63, v48, v8
	v_lshlrev_b16 v8, 2, v63
	s_delay_alu instid0(VALU_DEP_1) | instskip(NEXT) | instid1(VALU_DEP_1)
	v_and_b32_e32 v8, 0xfc, v8
	v_lshlrev_b32_e32 v8, 3, v8
	s_clause 0x1
	global_load_b128 v[24:27], v8, s[2:3]
	global_load_b128 v[8:11], v8, s[2:3] offset:16
	ds_load_2addr_b64 v[32:35], v107 offset1:11
	ds_load_2addr_b64 v[28:31], v107 offset0:22 offset1:33
	ds_load_2addr_b64 v[50:53], v107 offset0:66 offset1:77
	ds_load_2addr_b64 v[36:39], v107 offset0:88 offset1:99
	ds_load_2addr_b64 v[54:57], v107 offset0:132 offset1:143
	ds_load_2addr_b64 v[59:62], v107 offset0:44 offset1:55
	ds_load_2addr_b64 v[40:43], v107 offset0:110 offset1:121
	ds_load_b64 v[45:46], v107 offset:1232
	v_and_b32_e32 v66, 0xff, v63
	v_lshlrev_b32_e32 v49, 4, v109
	v_lshlrev_b32_e32 v65, 4, v44
	global_wb scope:SCOPE_SE
	s_wait_loadcnt_dscnt 0x0
	s_barrier_signal -1
	s_barrier_wait -1
	global_inv scope:SCOPE_SE
	v_mul_f32_e32 v73, v59, v13
	v_lshl_add_u32 v114, v66, 3, v111
	v_mul_f32_e32 v66, v51, v15
	v_add_co_u32 v44, s0, s2, v47
	s_wait_alu 0xf1ff
	v_add_co_ci_u32_e64 v47, null, s3, 0, s0
	v_mul_f32_e32 v74, v53, v15
	s_delay_alu instid0(VALU_DEP_3)
	v_sub_co_u32 v63, s0, v44, v49
	v_mul_f32_e32 v44, v31, v13
	s_wait_alu 0xf1ff
	v_subrev_co_ci_u32_e64 v64, s0, 0, v47, s0
	v_mul_f32_e32 v47, v30, v13
	v_dual_mul_f32 v68, v39, v1 :: v_dual_mul_f32 v71, v54, v3
	v_mul_f32_e32 v67, v50, v15
	v_dual_mul_f32 v69, v38, v1 :: v_dual_mul_f32 v70, v55, v3
	v_dual_mul_f32 v75, v52, v15 :: v_dual_mul_f32 v76, v41, v1
	v_dual_mul_f32 v106, v56, v3 :: v_dual_fmac_f32 v47, v31, v12
	v_mul_f32_e32 v77, v40, v1
	v_fma_f32 v30, v30, v12, -v44
	v_fma_f32 v31, v50, v14, -v66
	s_delay_alu instid0(VALU_DEP_4) | instskip(SKIP_2) | instid1(VALU_DEP_4)
	v_fmac_f32_e32 v106, v57, v2
	v_fma_f32 v44, v38, v0, -v68
	v_dual_mul_f32 v72, v60, v13 :: v_dual_mul_f32 v105, v57, v3
	v_dual_fmac_f32 v67, v51, v14 :: v_dual_sub_f32 v50, v30, v31
	v_fmac_f32_e32 v69, v39, v0
	v_fma_f32 v66, v54, v2, -v70
	v_fmac_f32_e32 v71, v55, v2
	v_fma_f32 v39, v52, v14, -v74
	v_fma_f32 v52, v40, v0, -v76
	v_dual_fmac_f32 v77, v41, v0 :: v_dual_sub_f32 v54, v31, v30
	v_add_f32_e32 v40, v32, v30
	v_dual_fmac_f32 v73, v60, v12 :: v_dual_sub_f32 v60, v67, v69
	v_dual_add_f32 v41, v31, v44 :: v_dual_sub_f32 v70, v30, v66
	v_fma_f32 v38, v59, v12, -v72
	v_dual_fmac_f32 v75, v53, v14 :: v_dual_add_f32 v68, v67, v69
	v_fma_f32 v59, v56, v2, -v105
	v_dual_add_f32 v53, v30, v66 :: v_dual_sub_f32 v72, v31, v44
	v_add_f32_e32 v56, v33, v47
	v_dual_sub_f32 v57, v47, v71 :: v_dual_add_f32 v116, v34, v38
	v_dual_sub_f32 v51, v66, v44 :: v_dual_sub_f32 v74, v47, v67
	v_dual_sub_f32 v55, v44, v66 :: v_dual_sub_f32 v76, v71, v69
	v_dual_add_f32 v105, v47, v71 :: v_dual_sub_f32 v118, v73, v106
	v_dual_add_f32 v125, v35, v73 :: v_dual_sub_f32 v132, v77, v106
	v_dual_add_f32 v131, v73, v106 :: v_dual_add_f32 v40, v40, v31
	v_fma_f32 v30, -0.5, v41, v32
	v_dual_sub_f32 v47, v67, v47 :: v_dual_sub_f32 v130, v106, v77
	v_dual_sub_f32 v112, v69, v71 :: v_dual_add_f32 v117, v39, v52
	v_dual_sub_f32 v121, v59, v52 :: v_dual_add_f32 v122, v38, v59
	v_dual_sub_f32 v123, v39, v38 :: v_dual_sub_f32 v124, v52, v59
	v_dual_sub_f32 v128, v39, v52 :: v_dual_sub_f32 v129, v73, v75
	v_fma_f32 v32, -0.5, v53, v32
	v_add_f32_e32 v41, v56, v67
	v_fma_f32 v31, -0.5, v68, v33
	v_dual_sub_f32 v73, v75, v73 :: v_dual_add_f32 v134, v54, v55
	v_add_f32_e32 v67, v74, v76
	v_fma_f32 v33, -0.5, v105, v33
	v_dual_add_f32 v55, v125, v75 :: v_dual_add_f32 v44, v40, v44
	v_dual_fmamk_f32 v40, v57, 0x3f737871, v30 :: v_dual_sub_f32 v119, v75, v77
	v_sub_f32_e32 v120, v38, v39
	v_dual_add_f32 v126, v75, v77 :: v_dual_sub_f32 v127, v38, v59
	v_add_f32_e32 v133, v50, v51
	v_add_f32_e32 v53, v116, v39
	v_fma_f32 v38, -0.5, v117, v34
	v_fma_f32 v34, -0.5, v122, v34
	v_dual_add_f32 v74, v123, v124 :: v_dual_add_f32 v75, v129, v130
	v_fmamk_f32 v50, v60, 0xbf737871, v32
	v_dual_fmac_f32 v32, 0x3f737871, v60 :: v_dual_add_f32 v69, v41, v69
	s_delay_alu instid0(VALU_DEP_4)
	v_dual_fmamk_f32 v41, v70, 0xbf737871, v31 :: v_dual_fmamk_f32 v54, v119, 0xbf737871, v34
	v_dual_add_f32 v47, v47, v112 :: v_dual_fmac_f32 v30, 0xbf737871, v57
	v_dual_add_f32 v77, v55, v77 :: v_dual_fmac_f32 v40, 0x3f167918, v60
	v_fmamk_f32 v51, v72, 0x3f737871, v33
	v_dual_fmac_f32 v33, 0xbf737871, v72 :: v_dual_add_f32 v56, v44, v66
	v_dual_fmac_f32 v31, 0x3f737871, v70 :: v_dual_fmac_f32 v34, 0x3f737871, v119
	v_dual_fmac_f32 v32, 0xbf167918, v57 :: v_dual_fmac_f32 v41, 0xbf167918, v72
	v_fma_f32 v39, -0.5, v126, v35
	v_dual_fmac_f32 v35, -0.5, v131 :: v_dual_add_f32 v76, v53, v52
	v_dual_add_f32 v73, v73, v132 :: v_dual_fmamk_f32 v52, v118, 0x3f737871, v38
	v_fmac_f32_e32 v38, 0xbf737871, v118
	v_fmac_f32_e32 v30, 0xbf167918, v60
	v_dual_fmac_f32 v50, 0x3f167918, v57 :: v_dual_fmac_f32 v31, 0x3f167918, v72
	s_delay_alu instid0(VALU_DEP_4) | instskip(SKIP_4) | instid1(VALU_DEP_3)
	v_dual_fmac_f32 v33, 0x3f167918, v70 :: v_dual_fmac_f32 v52, 0x3f167918, v119
	v_add_f32_e32 v60, v77, v106
	v_dual_fmac_f32 v51, 0xbf167918, v70 :: v_dual_fmac_f32 v38, 0xbf167918, v119
	v_dual_add_f32 v68, v120, v121 :: v_dual_add_f32 v57, v69, v71
	v_dual_fmac_f32 v40, 0x3e9e377a, v133 :: v_dual_fmac_f32 v41, 0x3e9e377a, v67
	v_dual_fmac_f32 v50, 0x3e9e377a, v134 :: v_dual_fmac_f32 v51, 0x3e9e377a, v47
	;; [unrolled: 1-line block ×3, first 2 shown]
	v_dual_add_f32 v59, v76, v59 :: v_dual_fmac_f32 v54, 0x3f167918, v118
	v_dual_fmac_f32 v30, 0x3e9e377a, v133 :: v_dual_fmac_f32 v31, 0x3e9e377a, v67
	v_fmamk_f32 v53, v127, 0xbf737871, v39
	v_fmac_f32_e32 v39, 0x3f737871, v127
	v_fmamk_f32 v55, v128, 0x3f737871, v35
	v_dual_fmac_f32 v35, 0xbf737871, v128 :: v_dual_mul_f32 v44, v46, v11
	ds_store_2addr_b64 v107, v[56:57], v[40:41] offset1:11
	ds_store_2addr_b64 v107, v[50:51], v[32:33] offset0:22 offset1:33
	ds_store_2addr_b64 v107, v[30:31], v[59:60] offset0:44 offset1:55
	v_mul_f32_e32 v30, v62, v25
	v_mul_f32_e32 v32, v37, v27
	;; [unrolled: 1-line block ×3, first 2 shown]
	v_dual_fmac_f32 v34, 0xbf167918, v118 :: v_dual_fmac_f32 v53, 0xbf167918, v128
	s_delay_alu instid0(VALU_DEP_4)
	v_fma_f32 v30, v61, v24, -v30
	v_mul_f32_e32 v33, v36, v27
	v_fma_f32 v32, v36, v26, -v32
	v_fma_f32 v36, v42, v8, -v40
	;; [unrolled: 1-line block ×3, first 2 shown]
	v_mul_f32_e32 v31, v61, v25
	v_mul_f32_e32 v41, v42, v9
	s_delay_alu instid0(VALU_DEP_4) | instskip(NEXT) | instid1(VALU_DEP_4)
	v_dual_fmac_f32 v55, 0xbf167918, v127 :: v_dual_add_f32 v42, v32, v36
	v_add_f32_e32 v50, v30, v40
	v_sub_f32_e32 v56, v36, v40
	s_delay_alu instid0(VALU_DEP_4)
	v_fmac_f32_e32 v41, v43, v8
	v_fmac_f32_e32 v31, v62, v24
	v_dual_sub_f32 v60, v30, v40 :: v_dual_fmac_f32 v33, v37, v26
	v_mul_f32_e32 v47, v45, v11
	v_fmac_f32_e32 v35, 0x3f167918, v127
	v_add_f32_e32 v37, v28, v30
	s_delay_alu instid0(VALU_DEP_4) | instskip(NEXT) | instid1(VALU_DEP_4)
	v_dual_sub_f32 v45, v30, v32 :: v_dual_sub_f32 v62, v31, v33
	v_dual_fmac_f32 v47, v46, v10 :: v_dual_sub_f32 v46, v40, v36
	v_dual_fmac_f32 v52, 0x3e9e377a, v68 :: v_dual_fmac_f32 v53, 0x3e9e377a, v75
	v_sub_f32_e32 v51, v32, v30
	v_fma_f32 v30, -0.5, v42, v28
	s_delay_alu instid0(VALU_DEP_4)
	v_dual_add_f32 v42, v45, v46 :: v_dual_fmac_f32 v39, 0x3f167918, v128
	v_sub_f32_e32 v44, v33, v41
	v_fmac_f32_e32 v38, 0x3e9e377a, v68
	v_sub_f32_e32 v66, v47, v41
	v_sub_f32_e32 v68, v33, v31
	v_fmac_f32_e32 v39, 0x3e9e377a, v75
	v_sub_f32_e32 v43, v31, v47
	v_sub_f32_e32 v61, v32, v36
	v_add_f32_e32 v32, v37, v32
	v_add_f32_e32 v45, v51, v56
	v_dual_add_f32 v57, v29, v31 :: v_dual_add_f32 v46, v62, v66
	v_fma_f32 v28, -0.5, v50, v28
	s_delay_alu instid0(VALU_DEP_4) | instskip(SKIP_3) | instid1(VALU_DEP_4)
	v_add_f32_e32 v51, v32, v36
	v_dual_sub_f32 v69, v41, v47 :: v_dual_fmamk_f32 v32, v43, 0x3f737871, v30
	v_add_f32_e32 v67, v31, v47
	v_fmac_f32_e32 v30, 0xbf737871, v43
	v_add_f32_e32 v40, v51, v40
	s_delay_alu instid0(VALU_DEP_4) | instskip(SKIP_4) | instid1(VALU_DEP_4)
	v_add_f32_e32 v50, v68, v69
	v_dual_fmac_f32 v32, 0x3f167918, v44 :: v_dual_add_f32 v59, v33, v41
	v_dual_fmamk_f32 v36, v44, 0xbf737871, v28 :: v_dual_add_f32 v33, v57, v33
	v_fmac_f32_e32 v30, 0xbf167918, v44
	v_fmac_f32_e32 v28, 0x3f737871, v44
	v_fma_f32 v31, -0.5, v59, v29
	v_dual_fmac_f32 v29, -0.5, v67 :: v_dual_fmac_f32 v32, 0x3e9e377a, v42
	v_dual_add_f32 v41, v33, v41 :: v_dual_fmac_f32 v36, 0x3f167918, v43
	s_delay_alu instid0(VALU_DEP_3) | instskip(NEXT) | instid1(VALU_DEP_3)
	v_fmamk_f32 v33, v60, 0xbf737871, v31
	v_fmamk_f32 v37, v61, 0x3f737871, v29
	v_fmac_f32_e32 v29, 0xbf737871, v61
	v_fmac_f32_e32 v31, 0x3f737871, v60
	s_delay_alu instid0(VALU_DEP_4) | instskip(NEXT) | instid1(VALU_DEP_4)
	v_dual_fmac_f32 v28, 0xbf167918, v43 :: v_dual_fmac_f32 v33, 0xbf167918, v61
	v_fmac_f32_e32 v37, 0xbf167918, v60
	s_delay_alu instid0(VALU_DEP_4) | instskip(NEXT) | instid1(VALU_DEP_4)
	v_fmac_f32_e32 v29, 0x3f167918, v60
	v_fmac_f32_e32 v31, 0x3f167918, v61
	v_dual_fmac_f32 v54, 0x3e9e377a, v74 :: v_dual_fmac_f32 v55, 0x3e9e377a, v73
	v_dual_fmac_f32 v34, 0x3e9e377a, v74 :: v_dual_fmac_f32 v35, 0x3e9e377a, v73
	v_dual_add_f32 v41, v41, v47 :: v_dual_fmac_f32 v36, 0x3e9e377a, v45
	v_dual_fmac_f32 v28, 0x3e9e377a, v45 :: v_dual_fmac_f32 v33, 0x3e9e377a, v46
	v_fmac_f32_e32 v37, 0x3e9e377a, v50
	v_fmac_f32_e32 v29, 0x3e9e377a, v50
	;; [unrolled: 1-line block ×4, first 2 shown]
	ds_store_2addr_b64 v107, v[52:53], v[54:55] offset0:66 offset1:77
	ds_store_2addr_b64 v107, v[34:35], v[38:39] offset0:88 offset1:99
	;; [unrolled: 1-line block ×4, first 2 shown]
	ds_store_b64 v114, v[30:31] offset:1232
	v_lshlrev_b32_e32 v28, 4, v48
	global_wb scope:SCOPE_SE
	s_wait_dscnt 0x0
	s_barrier_signal -1
	s_barrier_wait -1
	global_inv scope:SCOPE_SE
	s_clause 0x2
	global_load_b128 v[44:47], v[63:64], off offset:352
	global_load_b128 v[40:43], v65, s[2:3] offset:352
	global_load_b128 v[36:39], v28, s[2:3] offset:352
	v_add_nc_u32_e32 v29, 0x210, v49
	v_add_nc_u32_e32 v28, 0x2c0, v49
	s_clause 0x1
	global_load_b128 v[32:35], v29, s[2:3] offset:352
	global_load_b128 v[28:31], v28, s[2:3] offset:352
	ds_load_2addr_b64 v[52:55], v107 offset0:44 offset1:55
	ds_load_2addr_b64 v[59:62], v107 offset0:110 offset1:121
	ds_load_2addr_b64 v[63:66], v107 offset0:66 offset1:77
	ds_load_2addr_b64 v[67:70], v107 offset0:132 offset1:143
	ds_load_2addr_b64 v[71:74], v107 offset0:88 offset1:99
	ds_load_2addr_b64 v[116:119], v107 offset1:11
	ds_load_b64 v[56:57], v107 offset:1232
	ds_load_2addr_b64 v[48:51], v107 offset0:22 offset1:33
	v_lshl_add_u32 v112, v109, 3, v111
	s_add_nc_u64 s[0:1], s[12:13], 0x528
	s_wait_loadcnt_dscnt 0x406
	v_dual_mul_f32 v77, v60, v47 :: v_dual_mul_f32 v76, v54, v45
	s_wait_loadcnt_dscnt 0x305
	v_mul_f32_e32 v106, v64, v41
	s_wait_loadcnt_dscnt 0x204
	v_mul_f32_e32 v126, v67, v39
	v_mul_f32_e32 v121, v62, v43
	v_dual_mul_f32 v122, v61, v43 :: v_dual_mul_f32 v75, v55, v45
	v_dual_mul_f32 v124, v65, v37 :: v_dual_mul_f32 v105, v59, v47
	s_wait_loadcnt_dscnt 0x103
	v_mul_f32_e32 v128, v71, v33
	v_dual_mul_f32 v123, v66, v37 :: v_dual_mul_f32 v130, v69, v35
	v_dual_mul_f32 v125, v68, v39 :: v_dual_fmac_f32 v76, v55, v44
	v_fma_f32 v55, v59, v46, -v77
	v_fma_f32 v59, v63, v40, -v106
	s_delay_alu instid0(VALU_DEP_4)
	v_fmac_f32_e32 v130, v70, v34
	v_fmac_f32_e32 v126, v68, v38
	v_fma_f32 v61, v61, v42, -v121
	v_mul_f32_e32 v120, v63, v41
	s_wait_loadcnt 0x0
	v_mul_f32_e32 v131, v74, v29
	v_mul_f32_e32 v132, v73, v29
	v_mul_f32_e32 v127, v72, v33
	s_wait_dscnt 0x1
	v_mul_f32_e32 v134, v56, v31
	v_mul_f32_e32 v129, v70, v35
	v_fmac_f32_e32 v122, v62, v42
	v_fma_f32 v54, v54, v44, -v75
	v_fmac_f32_e32 v124, v66, v36
	v_fmac_f32_e32 v134, v57, v30
	;; [unrolled: 1-line block ×3, first 2 shown]
	v_fma_f32 v63, v67, v38, -v125
	v_fmac_f32_e32 v128, v72, v32
	v_dual_add_f32 v72, v59, v61 :: v_dual_mul_f32 v133, v57, v31
	s_delay_alu instid0(VALU_DEP_4)
	v_sub_f32_e32 v70, v76, v105
	v_fma_f32 v60, v65, v36, -v123
	v_fmac_f32_e32 v120, v64, v40
	v_fma_f32 v67, v69, v34, -v129
	v_fmac_f32_e32 v132, v74, v28
	v_fma_f32 v62, v71, v32, -v127
	v_fma_f32 v56, v56, v30, -v133
	v_dual_add_f32 v65, v54, v55 :: v_dual_add_f32 v68, v76, v105
	v_add_f32_e32 v66, v117, v76
	v_fma_f32 v64, v73, v28, -v131
	s_wait_dscnt 0x0
	v_dual_add_f32 v106, v60, v63 :: v_dual_add_f32 v121, v49, v124
	v_dual_add_f32 v57, v116, v54 :: v_dual_add_f32 v74, v119, v120
	v_add_f32_e32 v75, v120, v122
	v_dual_sub_f32 v71, v54, v55 :: v_dual_sub_f32 v76, v59, v61
	v_add_f32_e32 v69, v118, v59
	v_dual_sub_f32 v73, v120, v122 :: v_dual_add_f32 v138, v53, v132
	v_add_f32_e32 v77, v48, v60
	v_dual_sub_f32 v120, v124, v126 :: v_dual_add_f32 v127, v62, v67
	;; [unrolled: 2-line block ×3, first 2 shown]
	v_add_f32_e32 v135, v52, v64
	v_sub_f32_e32 v139, v64, v56
	v_fma_f32 v59, -0.5, v65, v116
	v_add_f32_e32 v64, v121, v126
	s_delay_alu instid0(VALU_DEP_4)
	v_dual_add_f32 v123, v124, v126 :: v_dual_add_f32 v56, v135, v56
	v_dual_sub_f32 v124, v60, v63 :: v_dual_add_f32 v125, v50, v62
	v_fma_f32 v60, -0.5, v68, v117
	v_sub_f32_e32 v129, v128, v130
	v_add_f32_e32 v128, v128, v130
	v_sub_f32_e32 v137, v132, v134
	v_add_f32_e32 v132, v132, v134
	v_add_f32_e32 v54, v57, v55
	v_fma_f32 v118, -0.5, v72, v118
	v_fmac_f32_e32 v119, -0.5, v75
	v_add_f32_e32 v55, v66, v105
	v_fma_f32 v65, -0.5, v106, v48
	v_fma_f32 v66, -0.5, v123, v49
	v_add_f32_e32 v61, v69, v61
	v_fma_f32 v50, -0.5, v127, v50
	v_fma_f32 v52, -0.5, v136, v52
	v_fmamk_f32 v69, v70, 0x3f5db3d7, v59
	v_dual_fmac_f32 v59, 0xbf5db3d7, v70 :: v_dual_fmamk_f32 v70, v71, 0xbf5db3d7, v60
	v_dual_fmac_f32 v60, 0x3f5db3d7, v71 :: v_dual_fmac_f32 v51, -0.5, v128
	s_delay_alu instid0(VALU_DEP_4)
	v_fmamk_f32 v48, v137, 0x3f5db3d7, v52
	v_dual_add_f32 v62, v74, v122 :: v_dual_add_f32 v63, v77, v63
	v_dual_fmac_f32 v53, -0.5, v132 :: v_dual_fmac_f32 v52, 0xbf5db3d7, v137
	v_fmamk_f32 v71, v73, 0x3f5db3d7, v118
	v_fmac_f32_e32 v118, 0xbf5db3d7, v73
	v_fmamk_f32 v72, v76, 0xbf5db3d7, v119
	v_fmac_f32_e32 v119, 0x3f5db3d7, v76
	v_dual_add_f32 v57, v138, v134 :: v_dual_fmamk_f32 v76, v133, 0xbf5db3d7, v51
	v_fmamk_f32 v73, v120, 0x3f5db3d7, v65
	v_fmamk_f32 v74, v124, 0xbf5db3d7, v66
	;; [unrolled: 1-line block ×3, first 2 shown]
	v_dual_add_f32 v67, v125, v67 :: v_dual_fmac_f32 v50, 0xbf5db3d7, v129
	v_dual_add_f32 v68, v131, v130 :: v_dual_fmac_f32 v65, 0xbf5db3d7, v120
	v_dual_fmac_f32 v66, 0x3f5db3d7, v124 :: v_dual_fmac_f32 v51, 0x3f5db3d7, v133
	v_fmamk_f32 v49, v139, 0xbf5db3d7, v53
	v_fmac_f32_e32 v53, 0x3f5db3d7, v139
	ds_store_2addr_b64 v112, v[61:62], v[63:64] offset0:11 offset1:22
	ds_store_2addr_b64 v112, v[69:70], v[71:72] offset0:55 offset1:66
	;; [unrolled: 1-line block ×3, first 2 shown]
	ds_store_b64 v107, v[54:55]
	ds_store_b64 v107, v[73:74] offset:616
	ds_store_b64 v107, v[65:66] offset:1056
	;; [unrolled: 1-line block ×8, first 2 shown]
	global_wb scope:SCOPE_SE
	s_wait_dscnt 0x0
	s_barrier_signal -1
	s_barrier_wait -1
	global_inv scope:SCOPE_SE
	s_clause 0xa
	global_load_b64 v[54:55], v[78:79], off offset:1320
	global_load_b64 v[75:76], v58, s[0:1] offset:120
	global_load_b64 v[105:106], v58, s[0:1] offset:240
	;; [unrolled: 1-line block ×10, first 2 shown]
	ds_load_2addr_b64 v[59:62], v107 offset1:15
	ds_load_2addr_b64 v[63:66], v107 offset0:30 offset1:45
	ds_load_2addr_b64 v[67:70], v107 offset0:60 offset1:75
	;; [unrolled: 1-line block ×4, first 2 shown]
	ds_load_b64 v[136:137], v107 offset:1200
	s_wait_loadcnt_dscnt 0xa05
	v_mul_f32_e32 v138, v60, v55
	s_wait_loadcnt 0x9
	v_dual_mul_f32 v77, v59, v55 :: v_dual_mul_f32 v140, v62, v76
	v_mul_f32_e32 v55, v61, v76
	s_wait_loadcnt_dscnt 0x804
	v_mul_f32_e32 v141, v64, v106
	s_wait_loadcnt 0x7
	v_dual_mul_f32 v139, v63, v106 :: v_dual_mul_f32 v142, v66, v121
	s_wait_loadcnt_dscnt 0x603
	v_dual_mul_f32 v106, v65, v121 :: v_dual_mul_f32 v143, v68, v123
	s_wait_loadcnt 0x5
	v_dual_mul_f32 v121, v67, v123 :: v_dual_mul_f32 v144, v70, v125
	s_delay_alu instid0(VALU_DEP_2)
	v_dual_mul_f32 v123, v69, v125 :: v_dual_fmac_f32 v106, v66, v120
	s_wait_loadcnt_dscnt 0x402
	v_mul_f32_e32 v145, v72, v127
	s_wait_loadcnt 0x3
	v_dual_mul_f32 v125, v71, v127 :: v_dual_mul_f32 v146, v74, v129
	v_mul_f32_e32 v127, v73, v129
	s_wait_loadcnt_dscnt 0x201
	v_mul_f32_e32 v147, v117, v131
	s_wait_loadcnt 0x1
	v_dual_mul_f32 v129, v116, v131 :: v_dual_mul_f32 v148, v119, v133
	v_mul_f32_e32 v131, v118, v133
	s_wait_loadcnt_dscnt 0x0
	v_mul_f32_e32 v149, v137, v135
	v_mul_f32_e32 v133, v136, v135
	v_fma_f32 v76, v59, v54, -v138
	v_fmac_f32_e32 v77, v60, v54
	v_fma_f32 v54, v61, v75, -v140
	v_fmac_f32_e32 v55, v62, v75
	;; [unrolled: 2-line block ×3, first 2 shown]
	v_fma_f32 v105, v65, v120, -v142
	v_fma_f32 v120, v67, v122, -v143
	v_fmac_f32_e32 v121, v68, v122
	v_fma_f32 v122, v69, v124, -v144
	v_fmac_f32_e32 v123, v70, v124
	;; [unrolled: 2-line block ×7, first 2 shown]
	ds_store_2addr_b64 v107, v[76:77], v[54:55] offset1:15
	ds_store_2addr_b64 v107, v[138:139], v[105:106] offset0:30 offset1:45
	ds_store_2addr_b64 v107, v[120:121], v[122:123] offset0:60 offset1:75
	;; [unrolled: 1-line block ×4, first 2 shown]
	ds_store_b64 v107, v[132:133] offset:1200
	s_and_saveexec_b32 s2, vcc_lo
	s_cbranch_execz .LBB0_9
; %bb.8:
	s_wait_alu 0xfffe
	v_add_co_u32 v54, s0, s0, v58
	s_wait_alu 0xf1ff
	v_add_co_ci_u32_e64 v55, null, s1, 0, s0
	s_clause 0xa
	global_load_b64 v[105:106], v[54:55], off offset:88
	global_load_b64 v[116:117], v[54:55], off offset:208
	;; [unrolled: 1-line block ×11, first 2 shown]
	ds_load_2addr_b64 v[58:61], v112 offset0:11 offset1:26
	ds_load_2addr_b64 v[62:65], v112 offset0:41 offset1:56
	;; [unrolled: 1-line block ×5, first 2 shown]
	ds_load_b64 v[134:135], v112 offset:1288
	s_wait_loadcnt_dscnt 0xa05
	v_mul_f32_e32 v136, v59, v106
	s_wait_loadcnt 0x9
	v_dual_mul_f32 v137, v58, v106 :: v_dual_mul_f32 v138, v61, v117
	s_wait_loadcnt_dscnt 0x804
	v_dual_mul_f32 v106, v60, v117 :: v_dual_mul_f32 v139, v63, v119
	s_wait_loadcnt 0x7
	v_dual_mul_f32 v117, v62, v119 :: v_dual_mul_f32 v140, v65, v121
	s_wait_loadcnt_dscnt 0x603
	v_mul_f32_e32 v141, v67, v123
	v_dual_mul_f32 v119, v64, v121 :: v_dual_fmac_f32 v106, v61, v116
	s_wait_loadcnt 0x5
	v_dual_mul_f32 v121, v66, v123 :: v_dual_mul_f32 v142, v69, v125
	v_mul_f32_e32 v123, v68, v125
	s_wait_loadcnt_dscnt 0x302
	v_dual_mul_f32 v143, v71, v127 :: v_dual_mul_f32 v144, v73, v129
	s_wait_loadcnt_dscnt 0x101
	v_dual_mul_f32 v125, v70, v127 :: v_dual_mul_f32 v146, v77, v133
	v_mul_f32_e32 v127, v72, v129
	v_mul_f32_e32 v145, v75, v131
	;; [unrolled: 1-line block ×4, first 2 shown]
	s_wait_loadcnt_dscnt 0x0
	v_mul_f32_e32 v147, v135, v55
	v_mul_f32_e32 v133, v134, v55
	v_fma_f32 v136, v58, v105, -v136
	v_fmac_f32_e32 v137, v59, v105
	v_fma_f32 v105, v60, v116, -v138
	v_fma_f32 v116, v62, v118, -v139
	v_fmac_f32_e32 v117, v63, v118
	v_fma_f32 v118, v64, v120, -v140
	v_fmac_f32_e32 v119, v65, v120
	;; [unrolled: 2-line block ×9, first 2 shown]
	ds_store_2addr_b64 v112, v[136:137], v[105:106] offset0:11 offset1:26
	ds_store_2addr_b64 v112, v[116:117], v[118:119] offset0:41 offset1:56
	;; [unrolled: 1-line block ×5, first 2 shown]
	ds_store_b64 v112, v[132:133] offset:1288
.LBB0_9:
	s_wait_alu 0xfffe
	s_or_b32 exec_lo, exec_lo, s2
	global_wb scope:SCOPE_SE
	s_wait_dscnt 0x0
	s_barrier_signal -1
	s_barrier_wait -1
	global_inv scope:SCOPE_SE
	ds_load_2addr_b64 v[74:77], v107 offset1:15
	ds_load_2addr_b64 v[66:69], v107 offset0:30 offset1:45
	ds_load_2addr_b64 v[58:61], v107 offset0:60 offset1:75
	;; [unrolled: 1-line block ×4, first 2 shown]
	ds_load_b64 v[105:106], v107 offset:1200
	s_and_saveexec_b32 s0, vcc_lo
	s_cbranch_execz .LBB0_11
; %bb.10:
	ds_load_2addr_b64 v[48:51], v112 offset0:41 offset1:56
	ds_load_2addr_b64 v[54:57], v112 offset0:11 offset1:26
	;; [unrolled: 1-line block ×5, first 2 shown]
	ds_load_b64 v[103:104], v112 offset:1288
	s_wait_dscnt 0x5
	v_dual_mov_b32 v52, v50 :: v_dual_mov_b32 v53, v51
	s_wait_dscnt 0x4
	v_dual_mov_b32 v50, v54 :: v_dual_mov_b32 v51, v55
.LBB0_11:
	s_wait_alu 0xfffe
	s_or_b32 exec_lo, exec_lo, s0
	s_wait_dscnt 0x5
	v_dual_add_f32 v54, v74, v76 :: v_dual_add_f32 v117, v75, v77
	s_wait_dscnt 0x0
	v_dual_sub_f32 v120, v77, v106 :: v_dual_add_nc_u32 v55, 0x108, v107
	v_add_f32_e32 v121, v106, v77
	s_delay_alu instid0(VALU_DEP_3)
	v_dual_add_f32 v118, v54, v66 :: v_dual_add_f32 v117, v117, v67
	v_dual_add_f32 v119, v105, v76 :: v_dual_add_nc_u32 v116, 0xb0, v107
	global_wb scope:SCOPE_SE
	v_add_f32_e32 v118, v118, v68
	v_dual_add_f32 v117, v117, v69 :: v_dual_add_nc_u32 v54, 0x160, v107
	v_sub_f32_e32 v122, v76, v105
	s_delay_alu instid0(VALU_DEP_3) | instskip(NEXT) | instid1(VALU_DEP_3)
	v_dual_mul_f32 v76, 0xbf0a6770, v120 :: v_dual_add_f32 v77, v118, v58
	v_dual_mul_f32 v118, 0x3f575c64, v121 :: v_dual_add_f32 v117, v117, v59
	s_barrier_signal -1
	s_barrier_wait -1
	s_delay_alu instid0(VALU_DEP_2) | instskip(NEXT) | instid1(VALU_DEP_2)
	v_dual_add_f32 v77, v77, v60 :: v_dual_mul_f32 v124, 0x3ed4b147, v121
	v_dual_add_f32 v117, v117, v61 :: v_dual_fmamk_f32 v128, v122, 0x3f0a6770, v118
	s_delay_alu instid0(VALU_DEP_2) | instskip(NEXT) | instid1(VALU_DEP_2)
	v_dual_mul_f32 v126, 0xbe11bafb, v121 :: v_dual_add_f32 v77, v77, v62
	v_dual_fmac_f32 v118, 0xbf0a6770, v122 :: v_dual_add_f32 v117, v117, v63
	v_mul_f32_e32 v123, 0xbf68dda4, v120
	global_inv scope:SCOPE_SE
	v_dual_add_f32 v77, v77, v64 :: v_dual_fmamk_f32 v130, v122, 0x3f68dda4, v124
	v_dual_fmac_f32 v124, 0xbf68dda4, v122 :: v_dual_add_f32 v117, v117, v65
	v_dual_mul_f32 v125, 0xbf7d64f0, v120 :: v_dual_add_f32 v118, v75, v118
	s_delay_alu instid0(VALU_DEP_3) | instskip(NEXT) | instid1(VALU_DEP_3)
	v_dual_add_f32 v77, v77, v70 :: v_dual_add_f32 v128, v75, v128
	v_dual_add_f32 v117, v117, v71 :: v_dual_mul_f32 v132, 0xbf27a4f4, v121
	v_mul_f32_e32 v121, 0xbf75a155, v121
	s_delay_alu instid0(VALU_DEP_3)
	v_add_f32_e32 v77, v77, v72
	v_fmamk_f32 v127, v119, 0x3f575c64, v76
	v_fma_f32 v76, 0x3f575c64, v119, -v76
	v_add_f32_e32 v117, v117, v73
	v_dual_sub_f32 v136, v67, v73 :: v_dual_fmamk_f32 v137, v122, 0x3e903f40, v121
	v_add_f32_e32 v67, v73, v67
	s_delay_alu instid0(VALU_DEP_4)
	v_dual_add_f32 v131, v74, v76 :: v_dual_add_f32 v76, v77, v105
	v_add_f32_e32 v127, v74, v127
	v_add_f32_e32 v77, v117, v106
	;; [unrolled: 1-line block ×3, first 2 shown]
	v_mul_f32_e32 v130, 0xbf4178ce, v120
	v_mul_f32_e32 v120, 0xbe903f40, v120
	v_fmamk_f32 v105, v119, 0xbe11bafb, v125
	v_fma_f32 v125, 0xbe11bafb, v119, -v125
	v_fmamk_f32 v134, v122, 0x3f4178ce, v132
	v_fmamk_f32 v133, v119, 0xbf27a4f4, v130
	v_fma_f32 v130, 0xbf27a4f4, v119, -v130
	v_fmamk_f32 v129, v119, 0x3ed4b147, v123
	v_fma_f32 v123, 0x3ed4b147, v119, -v123
	;; [unrolled: 2-line block ×3, first 2 shown]
	v_dual_mul_f32 v120, 0xbf68dda4, v136 :: v_dual_add_f32 v73, v72, v66
	s_delay_alu instid0(VALU_DEP_4) | instskip(SKIP_4) | instid1(VALU_DEP_4)
	v_add_f32_e32 v117, v74, v123
	v_dual_add_f32 v123, v75, v124 :: v_dual_fmamk_f32 v124, v122, 0x3f7d64f0, v126
	v_fmac_f32_e32 v126, 0xbf7d64f0, v122
	v_fmac_f32_e32 v132, 0xbf4178ce, v122
	v_add_f32_e32 v130, v74, v130
	v_dual_add_f32 v129, v74, v129 :: v_dual_add_f32 v124, v75, v124
	v_dual_fmac_f32 v121, 0xbe903f40, v122 :: v_dual_add_f32 v122, v75, v137
	v_sub_f32_e32 v66, v66, v72
	v_dual_add_f32 v105, v74, v105 :: v_dual_mul_f32 v72, 0x3ed4b147, v67
	v_fmamk_f32 v137, v73, 0x3ed4b147, v120
	v_fma_f32 v120, 0x3ed4b147, v73, -v120
	v_dual_add_f32 v125, v74, v125 :: v_dual_add_f32 v134, v75, v134
	v_dual_add_f32 v133, v74, v133 :: v_dual_add_f32 v132, v75, v132
	s_delay_alu instid0(VALU_DEP_3)
	v_add_f32_e32 v120, v120, v131
	v_add_f32_e32 v135, v74, v135
	v_add_f32_e32 v74, v74, v119
	v_fmamk_f32 v119, v66, 0x3f68dda4, v72
	v_fmac_f32_e32 v72, 0xbf68dda4, v66
	v_add_f32_e32 v126, v75, v126
	v_dual_add_f32 v75, v75, v121 :: v_dual_mul_f32 v138, 0xbf75a155, v67
	s_delay_alu instid0(VALU_DEP_3) | instskip(SKIP_1) | instid1(VALU_DEP_1)
	v_dual_add_f32 v119, v119, v128 :: v_dual_add_f32 v72, v72, v118
	v_mul_f32_e32 v118, 0x3e903f40, v136
	v_fmamk_f32 v131, v73, 0xbf75a155, v118
	v_fma_f32 v118, 0xbf75a155, v73, -v118
	s_delay_alu instid0(VALU_DEP_1) | instskip(NEXT) | instid1(VALU_DEP_1)
	v_dual_mul_f32 v121, 0xbf4178ce, v136 :: v_dual_add_f32 v118, v118, v125
	v_fmamk_f32 v128, v73, 0xbf27a4f4, v121
	v_fma_f32 v121, 0xbf27a4f4, v73, -v121
	s_delay_alu instid0(VALU_DEP_2) | instskip(SKIP_1) | instid1(VALU_DEP_3)
	v_dual_add_f32 v128, v128, v129 :: v_dual_add_f32 v127, v137, v127
	v_mul_f32_e32 v137, 0xbf27a4f4, v67
	v_add_f32_e32 v117, v121, v117
	s_delay_alu instid0(VALU_DEP_2) | instskip(SKIP_1) | instid1(VALU_DEP_2)
	v_fmamk_f32 v129, v66, 0x3f4178ce, v137
	v_fmac_f32_e32 v137, 0xbf4178ce, v66
	v_add_f32_e32 v106, v129, v106
	s_delay_alu instid0(VALU_DEP_2)
	v_add_f32_e32 v121, v137, v123
	v_fmamk_f32 v123, v66, 0xbe903f40, v138
	v_mul_f32_e32 v129, 0x3f7d64f0, v136
	v_add_f32_e32 v105, v131, v105
	v_mul_f32_e32 v131, 0xbe11bafb, v67
	v_mul_f32_e32 v136, 0x3f0a6770, v136
	s_delay_alu instid0(VALU_DEP_4) | instskip(SKIP_1) | instid1(VALU_DEP_4)
	v_dual_add_f32 v123, v123, v124 :: v_dual_fmamk_f32 v124, v73, 0xbe11bafb, v129
	v_fmac_f32_e32 v138, 0x3e903f40, v66
	v_fmamk_f32 v125, v66, 0xbf7d64f0, v131
	v_fmac_f32_e32 v131, 0x3f7d64f0, v66
	s_delay_alu instid0(VALU_DEP_4) | instskip(NEXT) | instid1(VALU_DEP_4)
	v_dual_mul_f32 v67, 0x3f575c64, v67 :: v_dual_add_f32 v124, v124, v133
	v_dual_fmamk_f32 v133, v73, 0x3f575c64, v136 :: v_dual_add_f32 v126, v138, v126
	s_delay_alu instid0(VALU_DEP_1) | instskip(NEXT) | instid1(VALU_DEP_3)
	v_dual_add_f32 v131, v131, v132 :: v_dual_add_f32 v132, v133, v135
	v_fmamk_f32 v133, v66, 0xbf0a6770, v67
	v_fmac_f32_e32 v67, 0x3f0a6770, v66
	v_sub_f32_e32 v66, v68, v70
	v_fma_f32 v129, 0xbe11bafb, v73, -v129
	v_dual_add_f32 v125, v125, v134 :: v_dual_add_f32 v134, v70, v68
	s_delay_alu instid0(VALU_DEP_4) | instskip(NEXT) | instid1(VALU_DEP_3)
	v_add_f32_e32 v67, v67, v75
	v_add_f32_e32 v129, v129, v130
	v_dual_sub_f32 v130, v69, v71 :: v_dual_add_f32 v69, v71, v69
	v_fma_f32 v71, 0x3f575c64, v73, -v136
	s_delay_alu instid0(VALU_DEP_2) | instskip(NEXT) | instid1(VALU_DEP_3)
	v_mul_f32_e32 v70, 0xbe11bafb, v69
	v_mul_f32_e32 v135, 0xbf7d64f0, v130
	s_delay_alu instid0(VALU_DEP_2) | instskip(NEXT) | instid1(VALU_DEP_2)
	v_dual_add_f32 v71, v71, v74 :: v_dual_fmamk_f32 v74, v66, 0x3f7d64f0, v70
	v_fmamk_f32 v68, v134, 0xbe11bafb, v135
	v_fmac_f32_e32 v70, 0xbf7d64f0, v66
	s_delay_alu instid0(VALU_DEP_3) | instskip(NEXT) | instid1(VALU_DEP_3)
	v_dual_mul_f32 v75, 0x3e903f40, v130 :: v_dual_add_f32 v74, v74, v119
	v_dual_add_f32 v68, v68, v127 :: v_dual_mul_f32 v127, 0xbf75a155, v69
	s_delay_alu instid0(VALU_DEP_3) | instskip(NEXT) | instid1(VALU_DEP_3)
	v_add_f32_e32 v70, v70, v72
	v_fmamk_f32 v119, v134, 0xbf75a155, v75
	v_fma_f32 v75, 0xbf75a155, v134, -v75
	s_delay_alu instid0(VALU_DEP_2) | instskip(NEXT) | instid1(VALU_DEP_1)
	v_dual_fmamk_f32 v72, v66, 0xbe903f40, v127 :: v_dual_add_f32 v119, v119, v128
	v_add_f32_e32 v72, v72, v106
	v_add_f32_e32 v73, v133, v122
	v_fma_f32 v122, 0xbe11bafb, v134, -v135
	s_delay_alu instid0(VALU_DEP_1) | instskip(SKIP_4) | instid1(VALU_DEP_4)
	v_add_f32_e32 v120, v122, v120
	v_mul_f32_e32 v122, 0x3f68dda4, v130
	v_mul_f32_e32 v133, 0x3f575c64, v69
	v_add_f32_e32 v75, v75, v117
	v_mul_f32_e32 v128, 0x3ed4b147, v69
	v_fmamk_f32 v106, v134, 0x3ed4b147, v122
	v_fma_f32 v122, 0x3ed4b147, v134, -v122
	s_delay_alu instid0(VALU_DEP_1) | instskip(SKIP_1) | instid1(VALU_DEP_1)
	v_add_f32_e32 v118, v122, v118
	v_fmac_f32_e32 v127, 0x3e903f40, v66
	v_add_f32_e32 v117, v127, v121
	v_mul_f32_e32 v121, 0xbf0a6770, v130
	s_delay_alu instid0(VALU_DEP_1) | instskip(SKIP_1) | instid1(VALU_DEP_1)
	v_fmamk_f32 v127, v134, 0x3f575c64, v121
	v_fma_f32 v121, 0x3f575c64, v134, -v121
	v_add_f32_e32 v121, v121, v129
	v_sub_f32_e32 v129, v59, v65
	v_add_f32_e32 v59, v65, v59
	v_add_f32_e32 v105, v106, v105
	v_fmamk_f32 v106, v66, 0xbf68dda4, v128
	v_fmac_f32_e32 v128, 0x3f68dda4, v66
	v_mul_f32_e32 v65, 0xbf4178ce, v129
	s_delay_alu instid0(VALU_DEP_3) | instskip(NEXT) | instid1(VALU_DEP_3)
	v_dual_mul_f32 v69, 0xbf27a4f4, v69 :: v_dual_add_f32 v106, v106, v123
	v_dual_add_f32 v122, v128, v126 :: v_dual_add_f32 v123, v127, v124
	v_fmamk_f32 v124, v66, 0x3f0a6770, v133
	v_mul_f32_e32 v126, 0xbf4178ce, v130
	s_delay_alu instid0(VALU_DEP_2) | instskip(NEXT) | instid1(VALU_DEP_2)
	v_dual_fmamk_f32 v127, v66, 0x3f4178ce, v69 :: v_dual_add_f32 v124, v124, v125
	v_fmamk_f32 v125, v134, 0xbf27a4f4, v126
	s_delay_alu instid0(VALU_DEP_2)
	v_add_f32_e32 v73, v127, v73
	v_add_f32_e32 v127, v64, v58
	v_fma_f32 v126, 0xbf27a4f4, v134, -v126
	v_sub_f32_e32 v58, v58, v64
	v_mul_f32_e32 v64, 0xbf27a4f4, v59
	v_fmac_f32_e32 v69, 0xbf4178ce, v66
	s_delay_alu instid0(VALU_DEP_4) | instskip(NEXT) | instid1(VALU_DEP_3)
	v_add_f32_e32 v71, v126, v71
	v_fmamk_f32 v126, v58, 0x3f4178ce, v64
	v_fmac_f32_e32 v64, 0xbf4178ce, v58
	s_delay_alu instid0(VALU_DEP_2)
	v_add_f32_e32 v74, v126, v74
	v_fmac_f32_e32 v133, 0xbf0a6770, v66
	v_fmamk_f32 v66, v127, 0xbf27a4f4, v65
	v_fma_f32 v65, 0xbf27a4f4, v127, -v65
	v_mul_f32_e32 v126, 0xbe11bafb, v59
	v_add_f32_e32 v64, v64, v70
	v_mul_f32_e32 v70, 0xbf0a6770, v129
	v_add_f32_e32 v66, v66, v68
	v_dual_add_f32 v65, v65, v120 :: v_dual_mul_f32 v120, 0x3f575c64, v59
	v_add_f32_e32 v67, v69, v67
	v_mul_f32_e32 v69, 0x3f7d64f0, v129
	v_fmamk_f32 v130, v127, 0x3f575c64, v70
	v_fma_f32 v70, 0x3f575c64, v127, -v70
	s_delay_alu instid0(VALU_DEP_3) | instskip(SKIP_1) | instid1(VALU_DEP_3)
	v_fmamk_f32 v68, v127, 0xbe11bafb, v69
	v_fma_f32 v69, 0xbe11bafb, v127, -v69
	v_add_f32_e32 v70, v70, v118
	s_delay_alu instid0(VALU_DEP_3) | instskip(SKIP_1) | instid1(VALU_DEP_4)
	v_dual_add_f32 v105, v130, v105 :: v_dual_add_f32 v68, v68, v119
	v_fmamk_f32 v119, v58, 0xbf7d64f0, v126
	v_dual_fmac_f32 v126, 0x3f7d64f0, v58 :: v_dual_add_f32 v69, v69, v75
	v_add_f32_e32 v128, v133, v131
	s_delay_alu instid0(VALU_DEP_3) | instskip(SKIP_1) | instid1(VALU_DEP_4)
	v_add_f32_e32 v72, v119, v72
	v_add_f32_e32 v125, v125, v132
	;; [unrolled: 1-line block ×3, first 2 shown]
	v_fmamk_f32 v117, v58, 0x3f0a6770, v120
	v_mul_f32_e32 v119, 0xbe903f40, v129
	v_fmac_f32_e32 v120, 0xbf0a6770, v58
	s_delay_alu instid0(VALU_DEP_2) | instskip(NEXT) | instid1(VALU_DEP_2)
	v_fmamk_f32 v126, v127, 0xbf75a155, v119
	v_add_f32_e32 v118, v120, v122
	s_delay_alu instid0(VALU_DEP_2) | instskip(NEXT) | instid1(VALU_DEP_1)
	v_dual_mul_f32 v120, 0x3f68dda4, v129 :: v_dual_add_f32 v123, v126, v123
	v_fmamk_f32 v126, v127, 0x3ed4b147, v120
	v_fma_f32 v120, 0x3ed4b147, v127, -v120
	s_delay_alu instid0(VALU_DEP_1) | instskip(SKIP_2) | instid1(VALU_DEP_2)
	v_add_f32_e32 v120, v120, v71
	v_fma_f32 v119, 0xbf75a155, v127, -v119
	v_add_f32_e32 v127, v62, v60
	v_add_f32_e32 v119, v119, v121
	;; [unrolled: 1-line block ×4, first 2 shown]
	v_dual_add_f32 v106, v117, v106 :: v_dual_mul_f32 v117, 0xbf75a155, v59
	v_mul_f32_e32 v59, 0x3ed4b147, v59
	s_delay_alu instid0(VALU_DEP_2) | instskip(SKIP_1) | instid1(VALU_DEP_1)
	v_fmamk_f32 v122, v58, 0x3e903f40, v117
	v_fmac_f32_e32 v117, 0xbe903f40, v58
	v_add_f32_e32 v117, v117, v128
	s_delay_alu instid0(VALU_DEP_3) | instskip(SKIP_3) | instid1(VALU_DEP_3)
	v_add_f32_e32 v122, v122, v124
	v_sub_f32_e32 v124, v61, v63
	v_sub_f32_e32 v128, v60, v62
	v_mul_f32_e32 v62, 0xbf75a155, v126
	v_mul_f32_e32 v61, 0xbe903f40, v124
	;; [unrolled: 1-line block ×3, first 2 shown]
	s_delay_alu instid0(VALU_DEP_2) | instskip(SKIP_3) | instid1(VALU_DEP_2)
	v_fma_f32 v60, 0xbf75a155, v127, -v61
	v_fmamk_f32 v125, v58, 0xbf68dda4, v59
	v_fmac_f32_e32 v59, 0x3f68dda4, v58
	v_fmamk_f32 v58, v127, 0xbf75a155, v61
	v_dual_add_f32 v60, v60, v65 :: v_dual_add_f32 v129, v59, v67
	v_fmamk_f32 v59, v128, 0x3e903f40, v62
	v_fmac_f32_e32 v62, 0xbe903f40, v128
	v_mul_f32_e32 v67, 0x3f575c64, v126
	v_dual_add_f32 v58, v58, v66 :: v_dual_mul_f32 v71, 0xbf4178ce, v124
	s_delay_alu instid0(VALU_DEP_2) | instskip(SKIP_2) | instid1(VALU_DEP_2)
	v_dual_add_f32 v61, v62, v64 :: v_dual_fmamk_f32 v64, v128, 0xbf0a6770, v67
	v_dual_fmamk_f32 v66, v127, 0x3f575c64, v63 :: v_dual_add_f32 v125, v125, v73
	v_fmac_f32_e32 v67, 0x3f0a6770, v128
	v_dual_mul_f32 v73, 0xbf27a4f4, v126 :: v_dual_add_f32 v62, v66, v68
	v_fma_f32 v68, 0xbf27a4f4, v127, -v71
	s_delay_alu instid0(VALU_DEP_1) | instskip(SKIP_3) | instid1(VALU_DEP_3)
	v_add_f32_e32 v68, v68, v70
	v_fma_f32 v65, 0x3f575c64, v127, -v63
	v_add_f32_e32 v63, v64, v72
	v_mul_f32_e32 v72, 0x3f68dda4, v124
	v_dual_add_f32 v64, v65, v69 :: v_dual_add_f32 v65, v67, v75
	v_fmamk_f32 v67, v128, 0x3f4178ce, v73
	v_fmac_f32_e32 v73, 0xbf4178ce, v128
	v_mul_f32_e32 v75, 0xbf7d64f0, v124
	s_delay_alu instid0(VALU_DEP_3) | instskip(SKIP_1) | instid1(VALU_DEP_1)
	v_add_f32_e32 v67, v67, v106
	v_mul_f32_e32 v106, 0xbe11bafb, v126
	v_dual_add_f32 v69, v73, v118 :: v_dual_fmamk_f32 v118, v128, 0x3f7d64f0, v106
	v_fmac_f32_e32 v106, 0xbf7d64f0, v128
	s_delay_alu instid0(VALU_DEP_1) | instskip(SKIP_3) | instid1(VALU_DEP_3)
	v_add_f32_e32 v106, v106, v129
	v_fmamk_f32 v66, v127, 0xbf27a4f4, v71
	v_fmamk_f32 v71, v127, 0x3ed4b147, v72
	v_fma_f32 v72, 0x3ed4b147, v127, -v72
	v_add_f32_e32 v66, v66, v105
	s_delay_alu instid0(VALU_DEP_3) | instskip(NEXT) | instid1(VALU_DEP_3)
	v_add_f32_e32 v70, v71, v123
	v_dual_add_f32 v59, v59, v74 :: v_dual_add_f32 v72, v72, v119
	v_mul_f32_e32 v74, 0x3ed4b147, v126
	v_fmamk_f32 v105, v127, 0xbe11bafb, v75
	v_fma_f32 v119, 0xbe11bafb, v127, -v75
	v_add_f32_e32 v75, v118, v125
	s_delay_alu instid0(VALU_DEP_4) | instskip(NEXT) | instid1(VALU_DEP_1)
	v_fmamk_f32 v73, v128, 0xbf68dda4, v74
	v_dual_fmac_f32 v74, 0x3f68dda4, v128 :: v_dual_add_f32 v71, v73, v122
	s_delay_alu instid0(VALU_DEP_1)
	v_add_f32_e32 v73, v74, v117
	v_dual_add_f32 v74, v105, v121 :: v_dual_add_f32 v105, v119, v120
	ds_store_2addr_b64 v115, v[76:77], v[58:59] offset1:1
	ds_store_2addr_b64 v115, v[62:63], v[66:67] offset0:2 offset1:3
	ds_store_2addr_b64 v115, v[70:71], v[74:75] offset0:4 offset1:5
	ds_store_2addr_b64 v115, v[105:106], v[72:73] offset0:6 offset1:7
	ds_store_2addr_b64 v115, v[68:69], v[64:65] offset0:8 offset1:9
	ds_store_b64 v115, v[60:61] offset:80
	s_and_saveexec_b32 s0, vcc_lo
	s_cbranch_execz .LBB0_13
; %bb.12:
	v_dual_add_f32 v62, v104, v57 :: v_dual_add_f32 v73, v103, v56
	v_dual_sub_f32 v66, v56, v103 :: v_dual_add_f32 v65, v5, v53
	v_dual_add_f32 v64, v7, v49 :: v_dual_sub_f32 v67, v48, v6
	s_delay_alu instid0(VALU_DEP_3) | instskip(NEXT) | instid1(VALU_DEP_3)
	v_dual_mul_f32 v68, 0xbf75a155, v62 :: v_dual_sub_f32 v69, v52, v4
	v_dual_sub_f32 v74, v57, v104 :: v_dual_mul_f32 v75, 0xbf27a4f4, v65
	s_delay_alu instid0(VALU_DEP_3) | instskip(NEXT) | instid1(VALU_DEP_3)
	v_dual_mul_f32 v72, 0x3f575c64, v64 :: v_dual_sub_f32 v117, v53, v5
	v_dual_fmamk_f32 v58, v66, 0x3e903f40, v68 :: v_dual_add_f32 v119, v4, v52
	v_dual_add_f32 v70, v23, v17 :: v_dual_sub_f32 v71, v16, v22
	s_delay_alu instid0(VALU_DEP_3) | instskip(NEXT) | instid1(VALU_DEP_3)
	v_dual_fmamk_f32 v59, v67, 0xbf0a6770, v72 :: v_dual_sub_f32 v76, v49, v7
	v_add_f32_e32 v58, v51, v58
	v_dual_mul_f32 v105, 0xbe903f40, v74 :: v_dual_add_f32 v118, v21, v19
	s_delay_alu instid0(VALU_DEP_4) | instskip(NEXT) | instid1(VALU_DEP_3)
	v_dual_mul_f32 v77, 0x3ed4b147, v70 :: v_dual_add_f32 v106, v6, v48
	v_dual_mul_f32 v115, 0x3f0a6770, v76 :: v_dual_add_f32 v58, v59, v58
	s_delay_alu instid0(VALU_DEP_3) | instskip(SKIP_3) | instid1(VALU_DEP_4)
	v_fmamk_f32 v59, v73, 0xbf75a155, v105
	v_fmamk_f32 v60, v69, 0x3f4178ce, v75
	v_dual_mul_f32 v120, 0xbf4178ce, v117 :: v_dual_sub_f32 v123, v18, v20
	v_dual_mul_f32 v121, 0xbe11bafb, v118 :: v_dual_sub_f32 v122, v17, v23
	v_add_f32_e32 v59, v50, v59
	s_delay_alu instid0(VALU_DEP_4) | instskip(NEXT) | instid1(VALU_DEP_3)
	v_dual_fmamk_f32 v61, v71, 0xbf68dda4, v77 :: v_dual_add_f32 v58, v60, v58
	v_dual_add_f32 v124, v22, v16 :: v_dual_mul_f32 v125, 0x3f68dda4, v122
	v_mul_f32_e32 v157, 0xbf4178ce, v76
	v_mul_f32_e32 v150, 0xbf27a4f4, v118
	s_delay_alu instid0(VALU_DEP_4)
	v_dual_add_f32 v58, v61, v58 :: v_dual_fmamk_f32 v61, v123, 0x3f7d64f0, v121
	v_fmamk_f32 v60, v106, 0x3f575c64, v115
	v_fmamk_f32 v63, v124, 0x3ed4b147, v125
	v_sub_f32_e32 v127, v19, v21
	v_fmamk_f32 v159, v106, 0xbf27a4f4, v157
	v_fmamk_f32 v153, v123, 0x3f4178ce, v150
	v_dual_add_f32 v59, v60, v59 :: v_dual_fmamk_f32 v60, v119, 0xbf27a4f4, v120
	s_delay_alu instid0(VALU_DEP_4) | instskip(SKIP_2) | instid1(VALU_DEP_4)
	v_dual_add_f32 v129, v20, v18 :: v_dual_mul_f32 v130, 0xbf7d64f0, v127
	v_mul_f32_e32 v128, 0xbe11bafb, v64
	v_mul_f32_e32 v146, 0x3e903f40, v76
	v_dual_add_f32 v60, v60, v59 :: v_dual_add_f32 v59, v61, v58
	v_mul_f32_e32 v141, 0xbf75a155, v64
	v_mul_f32_e32 v132, 0x3f575c64, v65
	s_delay_alu instid0(VALU_DEP_4) | instskip(NEXT) | instid1(VALU_DEP_4)
	v_fmamk_f32 v148, v106, 0xbf75a155, v146
	v_dual_add_f32 v58, v63, v60 :: v_dual_fmamk_f32 v63, v129, 0xbe11bafb, v130
	v_fmamk_f32 v61, v67, 0xbf7d64f0, v128
	v_mul_f32_e32 v131, 0xbf4178ce, v74
	v_mul_f32_e32 v126, 0xbf27a4f4, v62
	v_dual_fmamk_f32 v142, v67, 0xbe903f40, v141 :: v_dual_add_f32 v57, v57, v51
	v_mul_f32_e32 v143, 0x3ed4b147, v65
	s_delay_alu instid0(VALU_DEP_4)
	v_fmamk_f32 v133, v73, 0xbf27a4f4, v131
	v_mul_f32_e32 v134, 0x3f7d64f0, v76
	v_add_f32_e32 v56, v56, v50
	v_mul_f32_e32 v163, 0x3f575c64, v118
	v_dual_mul_f32 v152, 0x3ed4b147, v62 :: v_dual_mul_f32 v165, 0x3ed4b147, v64
	v_add_f32_e32 v133, v50, v133
	v_fmamk_f32 v136, v106, 0xbe11bafb, v134
	v_fmamk_f32 v60, v66, 0x3f4178ce, v126
	v_add_f32_e32 v58, v63, v58
	v_dual_add_f32 v48, v48, v56 :: v_dual_mul_f32 v155, 0xbf4178ce, v127
	s_delay_alu instid0(VALU_DEP_3) | instskip(SKIP_2) | instid1(VALU_DEP_4)
	v_dual_add_f32 v133, v136, v133 :: v_dual_add_f32 v60, v51, v60
	v_mul_f32_e32 v154, 0xbf27a4f4, v64
	v_fmac_f32_e32 v150, 0xbf4178ce, v123
	v_fmamk_f32 v161, v129, 0xbf27a4f4, v155
	s_delay_alu instid0(VALU_DEP_4)
	v_dual_mul_f32 v147, 0x3f575c64, v70 :: v_dual_add_f32 v60, v61, v60
	v_fmamk_f32 v61, v69, 0x3f0a6770, v132
	v_mul_f32_e32 v135, 0xbf75a155, v70
	v_fmac_f32_e32 v68, 0xbe903f40, v66
	v_mul_f32_e32 v160, 0x3e903f40, v117
	v_fmac_f32_e32 v72, 0x3f0a6770, v67
	s_delay_alu instid0(VALU_DEP_4) | instskip(SKIP_3) | instid1(VALU_DEP_4)
	v_dual_add_f32 v60, v61, v60 :: v_dual_fmamk_f32 v61, v71, 0x3e903f40, v135
	v_dual_mul_f32 v137, 0xbf0a6770, v117 :: v_dual_add_f32 v48, v52, v48
	v_fmac_f32_e32 v135, 0xbe903f40, v71
	v_fmac_f32_e32 v126, 0xbf4178ce, v66
	v_add_f32_e32 v60, v61, v60
	s_delay_alu instid0(VALU_DEP_4)
	v_fmamk_f32 v136, v119, 0x3f575c64, v137
	v_mul_f32_e32 v138, 0x3ed4b147, v118
	v_fmac_f32_e32 v128, 0x3f7d64f0, v67
	v_fmamk_f32 v167, v67, 0x3f68dda4, v165
	v_add_f32_e32 v49, v49, v57
	v_add_f32_e32 v133, v136, v133
	v_fmamk_f32 v61, v123, 0xbf68dda4, v138
	v_mul_f32_e32 v140, 0xbe11bafb, v62
	v_mul_f32_e32 v57, 0xbf68dda4, v76
	v_dual_fmac_f32 v138, 0x3f68dda4, v123 :: v_dual_add_f32 v49, v53, v49
	s_delay_alu instid0(VALU_DEP_3) | instskip(SKIP_2) | instid1(VALU_DEP_4)
	v_dual_add_f32 v61, v61, v60 :: v_dual_fmamk_f32 v60, v66, 0x3f7d64f0, v140
	v_mul_f32_e32 v139, 0xbe903f40, v122
	v_fmac_f32_e32 v132, 0xbf0a6770, v69
	v_add_f32_e32 v17, v17, v49
	s_delay_alu instid0(VALU_DEP_4) | instskip(NEXT) | instid1(VALU_DEP_4)
	v_dual_fmac_f32 v141, 0x3e903f40, v67 :: v_dual_add_f32 v60, v51, v60
	v_fmamk_f32 v136, v124, 0xbf75a155, v139
	v_fmamk_f32 v53, v106, 0x3ed4b147, v57
	s_delay_alu instid0(VALU_DEP_4) | instskip(NEXT) | instid1(VALU_DEP_4)
	v_add_f32_e32 v17, v19, v17
	v_dual_fmac_f32 v165, 0xbf68dda4, v67 :: v_dual_add_f32 v60, v142, v60
	s_delay_alu instid0(VALU_DEP_4) | instskip(SKIP_1) | instid1(VALU_DEP_4)
	v_dual_add_f32 v63, v136, v133 :: v_dual_fmamk_f32 v142, v69, 0xbf68dda4, v143
	v_mul_f32_e32 v133, 0x3f68dda4, v127
	v_add_f32_e32 v17, v21, v17
	v_dual_add_f32 v21, v51, v68 :: v_dual_mul_f32 v162, 0x3f7d64f0, v122
	s_delay_alu instid0(VALU_DEP_4) | instskip(NEXT) | instid1(VALU_DEP_3)
	v_add_f32_e32 v60, v142, v60
	v_dual_fmamk_f32 v144, v129, 0x3ed4b147, v133 :: v_dual_add_f32 v17, v23, v17
	v_dual_add_f32 v16, v16, v48 :: v_dual_fmac_f32 v143, 0x3f68dda4, v69
	v_mul_f32_e32 v48, 0xbf75a155, v118
	v_fmamk_f32 v142, v71, 0x3f0a6770, v147
	s_delay_alu instid0(VALU_DEP_3) | instskip(SKIP_1) | instid1(VALU_DEP_4)
	v_dual_mul_f32 v149, 0x3f68dda4, v117 :: v_dual_add_f32 v16, v18, v16
	v_fmac_f32_e32 v140, 0xbf7d64f0, v66
	v_fmamk_f32 v18, v123, 0x3e903f40, v48
	v_fmamk_f32 v64, v123, 0xbf0a6770, v163
	v_mul_f32_e32 v136, 0xbf7d64f0, v74
	v_add_f32_e32 v142, v142, v60
	v_add_f32_e32 v60, v144, v63
	v_fmamk_f32 v144, v66, 0x3f68dda4, v152
	v_fmac_f32_e32 v152, 0xbf68dda4, v66
	v_fmamk_f32 v145, v73, 0xbe11bafb, v136
	v_add_f32_e32 v63, v153, v142
	v_fma_f32 v23, 0x3ed4b147, v129, -v133
	v_dual_add_f32 v144, v51, v144 :: v_dual_add_f32 v21, v72, v21
	s_delay_alu instid0(VALU_DEP_4)
	v_add_f32_e32 v145, v50, v145
	v_add_f32_e32 v17, v5, v17
	v_fmac_f32_e32 v75, 0xbf4178ce, v69
	v_fmac_f32_e32 v77, 0x3f68dda4, v71
	;; [unrolled: 1-line block ×3, first 2 shown]
	v_dual_add_f32 v145, v148, v145 :: v_dual_fmamk_f32 v148, v119, 0x3ed4b147, v149
	v_add_f32_e32 v7, v7, v17
	v_mul_f32_e32 v168, 0xbe11bafb, v65
	v_fma_f32 v17, 0xbf75a155, v73, -v105
	v_fmac_f32_e32 v147, 0xbf0a6770, v71
	v_add_f32_e32 v145, v148, v145
	v_add_f32_e32 v7, v104, v7
	v_mul_f32_e32 v151, 0xbf0a6770, v122
	s_delay_alu instid0(VALU_DEP_1) | instskip(NEXT) | instid1(VALU_DEP_1)
	v_fmamk_f32 v148, v124, 0x3f575c64, v151
	v_dual_add_f32 v142, v148, v145 :: v_dual_mul_f32 v145, 0xbf68dda4, v74
	v_fmamk_f32 v148, v67, 0x3f4178ce, v154
	v_mul_f32_e32 v74, 0xbf0a6770, v74
	v_fmac_f32_e32 v154, 0xbf4178ce, v67
	s_delay_alu instid0(VALU_DEP_4) | instskip(SKIP_1) | instid1(VALU_DEP_4)
	v_fmamk_f32 v156, v73, 0x3ed4b147, v145
	v_mul_f32_e32 v153, 0xbf75a155, v65
	v_fmamk_f32 v56, v73, 0x3f575c64, v74
	v_add_f32_e32 v144, v148, v144
	s_delay_alu instid0(VALU_DEP_4) | instskip(NEXT) | instid1(VALU_DEP_3)
	v_add_f32_e32 v156, v50, v156
	v_add_f32_e32 v52, v50, v56
	v_mul_f32_e32 v56, 0xbf7d64f0, v117
	v_mul_f32_e32 v158, 0xbe11bafb, v70
	s_delay_alu instid0(VALU_DEP_4) | instskip(NEXT) | instid1(VALU_DEP_3)
	v_add_f32_e32 v156, v159, v156
	v_dual_add_f32 v49, v53, v52 :: v_dual_fmamk_f32 v52, v119, 0xbe11bafb, v56
	v_fmamk_f32 v148, v69, 0xbe903f40, v153
	v_mul_f32_e32 v53, 0xbf4178ce, v122
	v_dual_fmac_f32 v153, 0x3e903f40, v69 :: v_dual_add_f32 v16, v20, v16
	s_delay_alu instid0(VALU_DEP_4) | instskip(NEXT) | instid1(VALU_DEP_4)
	v_add_f32_e32 v19, v52, v49
	v_add_f32_e32 v144, v148, v144
	v_fmamk_f32 v148, v71, 0xbf7d64f0, v158
	v_fmamk_f32 v159, v119, 0xbf75a155, v160
	;; [unrolled: 1-line block ×3, first 2 shown]
	v_dual_mul_f32 v49, 0xbe903f40, v127 :: v_dual_add_f32 v52, v51, v152
	s_delay_alu instid0(VALU_DEP_4) | instskip(NEXT) | instid1(VALU_DEP_3)
	v_add_f32_e32 v144, v148, v144
	v_dual_mul_f32 v148, 0x3f575c64, v62 :: v_dual_add_f32 v19, v20, v19
	v_add_f32_e32 v62, v159, v156
	s_delay_alu instid0(VALU_DEP_4) | instskip(NEXT) | instid1(VALU_DEP_3)
	v_fmamk_f32 v20, v129, 0xbf75a155, v49
	v_dual_fmac_f32 v163, 0x3f0a6770, v123 :: v_dual_fmamk_f32 v164, v66, 0x3f0a6770, v148
	v_add_f32_e32 v16, v22, v16
	v_fmamk_f32 v156, v124, 0xbe11bafb, v162
	v_mul_f32_e32 v159, 0x3f0a6770, v127
	v_add_f32_e32 v65, v64, v144
	v_add_f32_e32 v164, v51, v164
	;; [unrolled: 1-line block ×6, first 2 shown]
	v_fmamk_f32 v166, v129, 0x3f575c64, v159
	v_add_f32_e32 v62, v161, v142
	v_add_f32_e32 v6, v6, v16
	;; [unrolled: 1-line block ×6, first 2 shown]
	v_fma_f32 v19, 0x3f575c64, v106, -v115
	v_add_f32_e32 v20, v132, v20
	v_add_f32_e32 v16, v77, v16
	v_mul_f32_e32 v70, 0xbf27a4f4, v70
	v_fma_f32 v21, 0xbe11bafb, v106, -v134
	v_fma_f32 v22, 0xbf75a155, v124, -v139
	v_add_f32_e32 v20, v135, v20
	v_fmamk_f32 v144, v69, 0x3f7d64f0, v168
	v_add_f32_e32 v52, v154, v52
	v_fma_f32 v68, 0xbf27a4f4, v129, -v155
	v_fmac_f32_e32 v158, 0x3f7d64f0, v71
	v_fmac_f32_e32 v148, 0xbf0a6770, v66
	v_add_f32_e32 v142, v144, v142
	v_fmamk_f32 v144, v71, 0x3f4178ce, v70
	v_add_f32_e32 v52, v153, v52
	v_fma_f32 v66, 0xbf27a4f4, v106, -v157
	v_fmac_f32_e32 v168, 0xbf7d64f0, v69
	s_delay_alu instid0(VALU_DEP_4) | instskip(NEXT) | instid1(VALU_DEP_1)
	v_add_f32_e32 v76, v144, v142
	v_add_f32_e32 v5, v18, v76
	v_dual_add_f32 v18, v50, v17 :: v_dual_add_f32 v17, v121, v16
	v_fma_f32 v16, 0xbf27a4f4, v73, -v131
	v_fmac_f32_e32 v70, 0xbf4178ce, v71
	s_delay_alu instid0(VALU_DEP_3) | instskip(SKIP_1) | instid1(VALU_DEP_4)
	v_add_f32_e32 v18, v19, v18
	v_fma_f32 v19, 0xbf27a4f4, v119, -v120
	v_add_f32_e32 v16, v50, v16
	s_delay_alu instid0(VALU_DEP_2) | instskip(SKIP_1) | instid1(VALU_DEP_3)
	v_add_f32_e32 v18, v19, v18
	v_fma_f32 v19, 0x3ed4b147, v124, -v125
	v_add_f32_e32 v16, v21, v16
	v_fma_f32 v21, 0x3f575c64, v119, -v137
	s_delay_alu instid0(VALU_DEP_3) | instskip(SKIP_1) | instid1(VALU_DEP_1)
	v_add_f32_e32 v18, v19, v18
	v_fma_f32 v19, 0xbe11bafb, v129, -v130
	v_dual_add_f32 v21, v21, v16 :: v_dual_add_f32 v16, v19, v18
	v_fma_f32 v18, 0xbe11bafb, v73, -v136
	v_add_f32_e32 v19, v138, v20
	s_delay_alu instid0(VALU_DEP_3) | instskip(SKIP_1) | instid1(VALU_DEP_4)
	v_add_f32_e32 v20, v22, v21
	v_fma_f32 v22, 0xbf75a155, v106, -v146
	v_dual_add_f32 v21, v51, v140 :: v_dual_add_f32 v18, v50, v18
	v_add_f32_e32 v51, v51, v148
	s_delay_alu instid0(VALU_DEP_2) | instskip(SKIP_1) | instid1(VALU_DEP_3)
	v_dual_add_f32 v21, v141, v21 :: v_dual_add_f32 v18, v22, v18
	v_fma_f32 v22, 0x3ed4b147, v119, -v149
	v_add_f32_e32 v51, v165, v51
	s_delay_alu instid0(VALU_DEP_2) | instskip(SKIP_1) | instid1(VALU_DEP_3)
	v_dual_add_f32 v21, v143, v21 :: v_dual_add_f32 v18, v22, v18
	v_fma_f32 v22, 0x3f575c64, v124, -v151
	v_add_f32_e32 v51, v168, v51
	s_delay_alu instid0(VALU_DEP_3) | instskip(NEXT) | instid1(VALU_DEP_3)
	v_dual_add_f32 v21, v147, v21 :: v_dual_fmac_f32 v48, 0xbe903f40, v123
	v_add_f32_e32 v22, v22, v18
	v_add_f32_e32 v18, v23, v20
	;; [unrolled: 1-line block ×3, first 2 shown]
	v_fma_f32 v52, 0x3f575c64, v73, -v74
	s_delay_alu instid0(VALU_DEP_4) | instskip(SKIP_2) | instid1(VALU_DEP_2)
	v_dual_add_f32 v51, v70, v51 :: v_dual_add_f32 v20, v68, v22
	v_fma_f32 v22, 0x3ed4b147, v73, -v145
	v_add_f32_e32 v21, v150, v21
	v_dual_add_f32 v23, v163, v23 :: v_dual_add_f32 v22, v50, v22
	v_add_f32_e32 v50, v50, v52
	v_fma_f32 v52, 0x3ed4b147, v106, -v57
	v_fma_f32 v57, 0xbf75a155, v119, -v160
	s_delay_alu instid0(VALU_DEP_4) | instskip(NEXT) | instid1(VALU_DEP_3)
	v_add_f32_e32 v22, v66, v22
	v_add_f32_e32 v50, v52, v50
	v_fma_f32 v52, 0xbe11bafb, v119, -v56
	v_fma_f32 v56, 0xbe11bafb, v124, -v162
	s_delay_alu instid0(VALU_DEP_4) | instskip(NEXT) | instid1(VALU_DEP_3)
	v_add_f32_e32 v22, v57, v22
	v_add_f32_e32 v50, v52, v50
	v_fma_f32 v52, 0xbf27a4f4, v124, -v53
	s_delay_alu instid0(VALU_DEP_3) | instskip(SKIP_2) | instid1(VALU_DEP_4)
	v_add_f32_e32 v22, v56, v22
	v_fma_f32 v53, 0x3f575c64, v129, -v159
	v_lshl_add_u32 v56, v113, 3, v111
	v_add_f32_e32 v50, v52, v50
	v_fma_f32 v52, 0xbf75a155, v129, -v49
	v_dual_add_f32 v49, v48, v51 :: v_dual_add_f32 v6, v103, v6
	v_add_f32_e32 v22, v53, v22
	s_delay_alu instid0(VALU_DEP_3)
	v_add_f32_e32 v48, v52, v50
	ds_store_2addr_b64 v56, v[6:7], v[4:5] offset1:1
	ds_store_2addr_b64 v56, v[64:65], v[62:63] offset0:2 offset1:3
	ds_store_2addr_b64 v56, v[60:61], v[58:59] offset0:4 offset1:5
	ds_store_2addr_b64 v56, v[16:17], v[18:19] offset0:6 offset1:7
	ds_store_2addr_b64 v56, v[20:21], v[22:23] offset0:8 offset1:9
	ds_store_b64 v56, v[48:49] offset:80
.LBB0_13:
	s_wait_alu 0xfffe
	s_or_b32 exec_lo, exec_lo, s0
	global_wb scope:SCOPE_SE
	s_wait_dscnt 0x0
	s_barrier_signal -1
	s_barrier_wait -1
	global_inv scope:SCOPE_SE
	ds_load_2addr_b64 v[4:7], v107 offset0:22 offset1:33
	ds_load_2addr_b64 v[16:19], v107 offset0:66 offset1:77
	;; [unrolled: 1-line block ×5, first 2 shown]
	ds_load_2addr_b64 v[60:63], v107 offset1:11
	ds_load_2addr_b64 v[64:67], v107 offset0:110 offset1:121
	ds_load_b64 v[52:53], v107 offset:1232
	global_wb scope:SCOPE_SE
	s_wait_dscnt 0x0
	s_barrier_signal -1
	s_barrier_wait -1
	global_inv scope:SCOPE_SE
	s_mov_b32 s2, 0x8d3018d3
	s_mov_b32 s3, 0x3f78d301
	v_dual_mul_f32 v68, v13, v7 :: v_dual_mul_f32 v71, v15, v16
	v_dual_mul_f32 v73, v1, v22 :: v_dual_mul_f32 v74, v3, v49
	;; [unrolled: 1-line block ×4, first 2 shown]
	v_mul_f32_e32 v76, v13, v57
	v_fmac_f32_e32 v68, v12, v6
	v_mul_f32_e32 v6, v13, v56
	v_fma_f32 v13, v0, v23, -v73
	v_dual_mul_f32 v23, v15, v19 :: v_dual_fmac_f32 v70, v14, v16
	v_fmac_f32_e32 v72, v0, v22
	v_fmac_f32_e32 v74, v2, v48
	v_mul_f32_e32 v48, v1, v65
	v_mul_f32_e32 v1, v1, v64
	v_fmac_f32_e32 v23, v14, v18
	v_fma_f32 v22, v12, v57, -v6
	v_mul_f32_e32 v6, v15, v18
	v_mul_f32_e32 v15, v3, v51
	v_fma_f32 v69, v12, v7, -v69
	v_fma_f32 v16, v14, v17, -v71
	v_fma_f32 v17, v2, v49, -v75
	s_delay_alu instid0(VALU_DEP_4)
	v_dual_fmac_f32 v76, v12, v56 :: v_dual_fmac_f32 v15, v2, v50
	v_fmac_f32_e32 v48, v0, v64
	v_fma_f32 v56, v0, v65, -v1
	v_mul_f32_e32 v0, v3, v50
	v_mul_f32_e32 v50, v25, v59
	;; [unrolled: 1-line block ×5, first 2 shown]
	v_sub_f32_e32 v7, v16, v13
	s_delay_alu instid0(VALU_DEP_3) | instskip(SKIP_1) | instid1(VALU_DEP_4)
	v_dual_sub_f32 v18, v68, v74 :: v_dual_fmac_f32 v25, v26, v20
	v_fma_f32 v49, v14, v19, -v6
	v_fma_f32 v57, v26, v21, -v3
	v_sub_f32_e32 v3, v69, v17
	v_fma_f32 v27, v2, v51, -v0
	v_fma_f32 v51, v24, v59, -v1
	v_dual_add_f32 v0, v70, v72 :: v_dual_mul_f32 v1, v9, v66
	v_dual_mul_f32 v59, v11, v53 :: v_dual_add_f32 v2, v60, v68
	v_dual_sub_f32 v6, v68, v70 :: v_dual_mul_f32 v11, v11, v52
	s_delay_alu instid0(VALU_DEP_2) | instskip(NEXT) | instid1(VALU_DEP_4)
	v_dual_fmac_f32 v50, v24, v58 :: v_dual_fmac_f32 v59, v10, v52
	v_fma_f32 v0, -0.5, v0, v60
	v_fma_f32 v64, v8, v67, -v1
	s_delay_alu instid0(VALU_DEP_4) | instskip(SKIP_4) | instid1(VALU_DEP_3)
	v_fma_f32 v52, v10, v53, -v11
	v_add_f32_e32 v11, v61, v69
	v_dual_mul_f32 v58, v9, v67 :: v_dual_add_f32 v1, v2, v70
	v_dual_fmamk_f32 v2, v3, 0xbf737871, v0 :: v_dual_add_f32 v9, v68, v74
	v_fmac_f32_e32 v0, 0x3f737871, v3
	v_dual_fmac_f32 v58, v8, v66 :: v_dual_add_f32 v1, v1, v72
	v_sub_f32_e32 v8, v74, v72
	s_delay_alu instid0(VALU_DEP_4) | instskip(SKIP_2) | instid1(VALU_DEP_4)
	v_fmac_f32_e32 v2, 0xbf167918, v7
	v_add_f32_e32 v14, v16, v13
	v_dual_fmac_f32 v0, 0x3f167918, v7 :: v_dual_sub_f32 v19, v17, v13
	v_add_f32_e32 v12, v6, v8
	v_fma_f32 v6, -0.5, v9, v60
	v_dual_add_f32 v8, v1, v74 :: v_dual_sub_f32 v1, v70, v68
	v_sub_f32_e32 v9, v72, v74
	v_dual_sub_f32 v21, v15, v48 :: v_dual_add_f32 v24, v76, v15
	v_sub_f32_e32 v53, v52, v64
	s_delay_alu instid0(VALU_DEP_3)
	v_add_f32_e32 v9, v1, v9
	v_fma_f32 v1, -0.5, v14, v61
	v_fmamk_f32 v10, v7, 0x3f737871, v6
	v_sub_f32_e32 v14, v70, v72
	v_dual_fmac_f32 v6, 0xbf737871, v7 :: v_dual_add_f32 v7, v11, v16
	v_fmac_f32_e32 v2, 0x3e9e377a, v12
	v_fmac_f32_e32 v0, 0x3e9e377a, v12
	s_delay_alu instid0(VALU_DEP_3) | instskip(SKIP_4) | instid1(VALU_DEP_4)
	v_dual_fmac_f32 v6, 0x3f167918, v3 :: v_dual_add_f32 v11, v7, v13
	v_dual_add_f32 v7, v69, v17 :: v_dual_fmac_f32 v10, 0xbf167918, v3
	v_sub_f32_e32 v13, v13, v17
	v_fmamk_f32 v3, v18, 0x3f737871, v1
	v_dual_fmac_f32 v1, 0xbf737871, v18 :: v_dual_sub_f32 v12, v69, v16
	v_fma_f32 v7, -0.5, v7, v61
	s_delay_alu instid0(VALU_DEP_3) | instskip(NEXT) | instid1(VALU_DEP_3)
	v_fmac_f32_e32 v3, 0x3f167918, v14
	v_dual_fmac_f32 v6, 0x3e9e377a, v9 :: v_dual_add_f32 v19, v12, v19
	v_fmac_f32_e32 v10, 0x3e9e377a, v9
	v_add_f32_e32 v9, v11, v17
	v_fmamk_f32 v11, v14, 0xbf737871, v7
	v_add_f32_e32 v17, v62, v76
	v_fmac_f32_e32 v3, 0x3e9e377a, v19
	s_delay_alu instid0(VALU_DEP_3) | instskip(SKIP_2) | instid1(VALU_DEP_2)
	v_fmac_f32_e32 v11, 0x3f167918, v18
	v_dual_fmac_f32 v1, 0xbf167918, v14 :: v_dual_sub_f32 v12, v16, v69
	v_fmac_f32_e32 v7, 0x3f737871, v14
	v_dual_fmac_f32 v1, 0x3e9e377a, v19 :: v_dual_add_f32 v16, v23, v48
	s_delay_alu instid0(VALU_DEP_3) | instskip(NEXT) | instid1(VALU_DEP_2)
	v_dual_add_f32 v13, v12, v13 :: v_dual_sub_f32 v20, v22, v27
	v_fma_f32 v12, -0.5, v16, v62
	s_delay_alu instid0(VALU_DEP_2) | instskip(SKIP_2) | instid1(VALU_DEP_4)
	v_dual_fmac_f32 v11, 0x3e9e377a, v13 :: v_dual_add_f32 v16, v17, v23
	v_sub_f32_e32 v17, v49, v56
	v_fmac_f32_e32 v7, 0xbf167918, v18
	v_fmamk_f32 v14, v20, 0xbf737871, v12
	v_sub_f32_e32 v19, v76, v23
	v_add_f32_e32 v16, v16, v48
	v_fma_f32 v62, -0.5, v24, v62
	v_fmac_f32_e32 v12, 0x3f737871, v20
	v_fmac_f32_e32 v14, 0xbf167918, v17
	s_delay_alu instid0(VALU_DEP_4)
	v_dual_add_f32 v19, v19, v21 :: v_dual_add_f32 v16, v16, v15
	v_fmac_f32_e32 v7, 0x3e9e377a, v13
	v_dual_fmamk_f32 v18, v17, 0x3f737871, v62 :: v_dual_sub_f32 v13, v23, v76
	v_dual_sub_f32 v21, v48, v15 :: v_dual_add_f32 v24, v63, v22
	v_fmac_f32_e32 v12, 0x3f167918, v17
	v_fmac_f32_e32 v62, 0xbf737871, v17
	s_delay_alu instid0(VALU_DEP_3) | instskip(NEXT) | instid1(VALU_DEP_4)
	v_dual_fmac_f32 v14, 0x3e9e377a, v19 :: v_dual_add_f32 v21, v13, v21
	v_dual_add_f32 v26, v49, v56 :: v_dual_add_f32 v17, v24, v49
	v_fmac_f32_e32 v18, 0xbf167918, v20
	v_sub_f32_e32 v24, v76, v15
	s_delay_alu instid0(VALU_DEP_3) | instskip(NEXT) | instid1(VALU_DEP_4)
	v_fma_f32 v13, -0.5, v26, v63
	v_add_f32_e32 v17, v17, v56
	v_sub_f32_e32 v26, v27, v56
	v_fmac_f32_e32 v12, 0x3e9e377a, v19
	v_dual_add_f32 v19, v22, v27 :: v_dual_fmac_f32 v18, 0x3e9e377a, v21
	s_delay_alu instid0(VALU_DEP_4) | instskip(NEXT) | instid1(VALU_DEP_2)
	v_add_f32_e32 v17, v17, v27
	v_dual_fmac_f32 v63, -0.5, v19 :: v_dual_fmac_f32 v62, 0x3f167918, v20
	v_dual_sub_f32 v20, v23, v48 :: v_dual_sub_f32 v23, v22, v49
	v_dual_fmamk_f32 v15, v24, 0x3f737871, v13 :: v_dual_sub_f32 v22, v49, v22
	s_delay_alu instid0(VALU_DEP_3) | instskip(SKIP_1) | instid1(VALU_DEP_4)
	v_fmac_f32_e32 v62, 0x3e9e377a, v21
	v_fmac_f32_e32 v13, 0xbf737871, v24
	v_add_f32_e32 v21, v23, v26
	s_delay_alu instid0(VALU_DEP_4) | instskip(SKIP_2) | instid1(VALU_DEP_3)
	v_dual_fmac_f32 v15, 0x3f167918, v20 :: v_dual_add_f32 v26, v25, v58
	v_sub_f32_e32 v23, v56, v27
	v_sub_f32_e32 v27, v51, v52
	v_dual_sub_f32 v48, v57, v64 :: v_dual_fmac_f32 v15, 0x3e9e377a, v21
	v_fmamk_f32 v19, v20, 0xbf737871, v63
	v_fmac_f32_e32 v63, 0x3f737871, v20
	v_dual_add_f32 v23, v22, v23 :: v_dual_add_f32 v22, v4, v50
	v_fmac_f32_e32 v13, 0xbf167918, v20
	s_delay_alu instid0(VALU_DEP_4) | instskip(SKIP_4) | instid1(VALU_DEP_2)
	v_fmac_f32_e32 v19, 0x3f167918, v24
	v_fma_f32 v20, -0.5, v26, v4
	v_dual_sub_f32 v26, v59, v58 :: v_dual_fmac_f32 v63, 0xbf167918, v24
	v_sub_f32_e32 v24, v50, v25
	v_dual_fmac_f32 v13, 0x3e9e377a, v21 :: v_dual_sub_f32 v56, v64, v52
	v_dual_add_f32 v26, v24, v26 :: v_dual_add_f32 v21, v22, v25
	v_fmamk_f32 v22, v27, 0xbf737871, v20
	v_fmac_f32_e32 v20, 0x3f737871, v27
	v_add_f32_e32 v49, v50, v59
	s_delay_alu instid0(VALU_DEP_3) | instskip(NEXT) | instid1(VALU_DEP_3)
	v_dual_add_f32 v21, v21, v58 :: v_dual_fmac_f32 v22, 0xbf167918, v48
	v_fmac_f32_e32 v20, 0x3f167918, v48
	s_delay_alu instid0(VALU_DEP_3) | instskip(SKIP_1) | instid1(VALU_DEP_4)
	v_fma_f32 v4, -0.5, v49, v4
	v_fmac_f32_e32 v19, 0x3e9e377a, v23
	v_add_f32_e32 v24, v21, v59
	v_dual_fmac_f32 v22, 0x3e9e377a, v26 :: v_dual_fmac_f32 v63, 0x3e9e377a, v23
	v_fmac_f32_e32 v20, 0x3e9e377a, v26
	v_dual_fmamk_f32 v26, v48, 0x3f737871, v4 :: v_dual_add_f32 v21, v57, v64
	v_dual_sub_f32 v23, v25, v50 :: v_dual_fmac_f32 v4, 0xbf737871, v48
	v_sub_f32_e32 v49, v58, v59
	v_add_f32_e32 v48, v5, v51
	s_delay_alu instid0(VALU_DEP_4) | instskip(SKIP_2) | instid1(VALU_DEP_4)
	v_fma_f32 v21, -0.5, v21, v5
	v_sub_f32_e32 v50, v50, v59
	v_dual_fmac_f32 v26, 0xbf167918, v27 :: v_dual_sub_f32 v25, v25, v58
	v_dual_fmac_f32 v4, 0x3f167918, v27 :: v_dual_add_f32 v27, v48, v57
	v_add_f32_e32 v48, v51, v52
	v_add_f32_e32 v49, v23, v49
	v_fmamk_f32 v23, v50, 0x3f737871, v21
	s_delay_alu instid0(VALU_DEP_3) | instskip(NEXT) | instid1(VALU_DEP_3)
	v_dual_fmac_f32 v5, -0.5, v48 :: v_dual_sub_f32 v48, v51, v57
	v_fmac_f32_e32 v26, 0x3e9e377a, v49
	v_dual_fmac_f32 v4, 0x3e9e377a, v49 :: v_dual_add_f32 v49, v27, v64
	s_delay_alu instid0(VALU_DEP_4) | instskip(NEXT) | instid1(VALU_DEP_4)
	v_fmac_f32_e32 v23, 0x3f167918, v25
	v_dual_fmac_f32 v21, 0xbf737871, v50 :: v_dual_add_f32 v48, v48, v53
	v_fmamk_f32 v27, v25, 0xbf737871, v5
	v_sub_f32_e32 v51, v57, v51
	v_fmac_f32_e32 v5, 0x3f737871, v25
	s_delay_alu instid0(VALU_DEP_4)
	v_fmac_f32_e32 v21, 0xbf167918, v25
	v_fmac_f32_e32 v23, 0x3e9e377a, v48
	;; [unrolled: 1-line block ×3, first 2 shown]
	v_add_f32_e32 v51, v51, v56
	v_fmac_f32_e32 v5, 0xbf167918, v50
	v_fmac_f32_e32 v21, 0x3e9e377a, v48
	v_add_f32_e32 v25, v49, v52
	s_delay_alu instid0(VALU_DEP_4) | instskip(NEXT) | instid1(VALU_DEP_4)
	v_fmac_f32_e32 v27, 0x3e9e377a, v51
	v_fmac_f32_e32 v5, 0x3e9e377a, v51
	ds_store_2addr_b64 v107, v[8:9], v[2:3] offset1:11
	ds_store_2addr_b64 v107, v[10:11], v[6:7] offset0:22 offset1:33
	ds_store_2addr_b64 v107, v[0:1], v[16:17] offset0:44 offset1:55
	ds_store_2addr_b64 v107, v[14:15], v[18:19] offset0:66 offset1:77
	ds_store_2addr_b64 v107, v[62:63], v[12:13] offset0:88 offset1:99
	ds_store_2addr_b64 v114, v[24:25], v[22:23] offset0:110 offset1:121
	ds_store_2addr_b64 v114, v[26:27], v[4:5] offset0:132 offset1:143
	ds_store_b64 v114, v[20:21] offset:1232
	global_wb scope:SCOPE_SE
	s_wait_dscnt 0x0
	s_barrier_signal -1
	s_barrier_wait -1
	global_inv scope:SCOPE_SE
	ds_load_2addr_b64 v[0:3], v107 offset0:44 offset1:55
	ds_load_2addr_b64 v[4:7], v107 offset0:110 offset1:121
	;; [unrolled: 1-line block ×3, first 2 shown]
	ds_load_2addr_b64 v[12:15], v107 offset1:11
	ds_load_2addr_b64 v[16:19], v107 offset0:22 offset1:33
	ds_load_2addr_b64 v[20:23], v107 offset0:132 offset1:143
	;; [unrolled: 1-line block ×3, first 2 shown]
	ds_load_b64 v[48:49], v107 offset:1232
	s_wait_dscnt 0x7
	v_mul_f32_e32 v50, v45, v3
	v_mul_f32_e32 v45, v45, v2
	s_wait_dscnt 0x6
	s_delay_alu instid0(VALU_DEP_2) | instskip(SKIP_1) | instid1(VALU_DEP_3)
	v_dual_mul_f32 v51, v47, v5 :: v_dual_fmac_f32 v50, v44, v2
	v_mul_f32_e32 v2, v47, v4
	v_fma_f32 v3, v44, v3, -v45
	s_wait_dscnt 0x5
	s_delay_alu instid0(VALU_DEP_3) | instskip(SKIP_2) | instid1(VALU_DEP_3)
	v_dual_mul_f32 v44, v41, v9 :: v_dual_fmac_f32 v51, v46, v4
	v_mul_f32_e32 v4, v41, v8
	v_fma_f32 v5, v46, v5, -v2
	v_dual_mul_f32 v41, v43, v7 :: v_dual_fmac_f32 v44, v40, v8
	v_mul_f32_e32 v2, v43, v6
	s_delay_alu instid0(VALU_DEP_4)
	v_fma_f32 v9, v40, v9, -v4
	v_mul_f32_e32 v40, v37, v11
	v_mul_f32_e32 v4, v37, v10
	v_fmac_f32_e32 v41, v42, v6
	v_fma_f32 v37, v42, v7, -v2
	s_wait_dscnt 0x2
	v_mul_f32_e32 v42, v39, v21
	v_fmac_f32_e32 v40, v36, v10
	v_mul_f32_e32 v2, v39, v20
	v_fma_f32 v36, v36, v11, -v4
	s_wait_dscnt 0x1
	v_mul_f32_e32 v39, v33, v25
	v_dual_mul_f32 v4, v33, v24 :: v_dual_mul_f32 v33, v35, v23
	v_add_f32_e32 v6, v12, v50
	v_fma_f32 v21, v38, v21, -v2
	s_delay_alu instid0(VALU_DEP_4) | instskip(NEXT) | instid1(VALU_DEP_4)
	v_dual_mul_f32 v2, v35, v22 :: v_dual_fmac_f32 v39, v32, v24
	v_fma_f32 v24, v32, v25, -v4
	v_mul_f32_e32 v32, v29, v27
	v_mul_f32_e32 v4, v29, v26
	v_fmac_f32_e32 v33, v34, v22
	v_fma_f32 v23, v34, v23, -v2
	s_wait_dscnt 0x0
	v_mul_f32_e32 v2, v31, v48
	v_dual_mul_f32 v29, v31, v49 :: v_dual_fmac_f32 v32, v28, v26
	v_fma_f32 v26, v28, v27, -v4
	v_add_f32_e32 v4, v50, v51
	s_delay_alu instid0(VALU_DEP_4) | instskip(SKIP_2) | instid1(VALU_DEP_4)
	v_fma_f32 v27, v30, v49, -v2
	v_dual_add_f32 v7, v3, v5 :: v_dual_add_f32 v10, v13, v3
	v_sub_f32_e32 v8, v3, v5
	v_fma_f32 v2, -0.5, v4, v12
	v_add_f32_e32 v4, v6, v51
	v_fmac_f32_e32 v29, v30, v48
	v_fma_f32 v3, -0.5, v7, v13
	s_delay_alu instid0(VALU_DEP_4) | instskip(SKIP_1) | instid1(VALU_DEP_2)
	v_dual_sub_f32 v11, v50, v51 :: v_dual_fmamk_f32 v6, v8, 0xbf5db3d7, v2
	v_dual_fmac_f32 v2, 0x3f5db3d7, v8 :: v_dual_add_f32 v5, v10, v5
	v_dual_add_f32 v8, v44, v41 :: v_dual_fmamk_f32 v7, v11, 0x3f5db3d7, v3
	v_fmac_f32_e32 v42, v38, v20
	v_dual_add_f32 v10, v14, v44 :: v_dual_fmac_f32 v3, 0xbf5db3d7, v11
	s_delay_alu instid0(VALU_DEP_3)
	v_fma_f32 v14, -0.5, v8, v14
	v_sub_f32_e32 v12, v9, v37
	v_add_f32_e32 v11, v9, v37
	v_add_f32_e32 v9, v15, v9
	v_dual_sub_f32 v22, v36, v21 :: v_dual_add_f32 v25, v17, v36
	v_sub_f32_e32 v13, v44, v41
	v_add_f32_e32 v8, v10, v41
	v_dual_fmamk_f32 v10, v12, 0xbf5db3d7, v14 :: v_dual_fmac_f32 v15, -0.5, v11
	v_dual_fmac_f32 v14, 0x3f5db3d7, v12 :: v_dual_add_f32 v9, v9, v37
	v_add_f32_e32 v12, v40, v42
	v_add_f32_e32 v20, v16, v40
	v_sub_f32_e32 v28, v40, v42
	v_sub_f32_e32 v30, v24, v23
	v_add_f32_e32 v31, v0, v32
	v_fma_f32 v12, -0.5, v12, v16
	v_add_f32_e32 v16, v20, v42
	s_delay_alu instid0(VALU_DEP_2) | instskip(SKIP_3) | instid1(VALU_DEP_1)
	v_fmamk_f32 v20, v22, 0xbf5db3d7, v12
	v_fmamk_f32 v11, v13, 0x3f5db3d7, v15
	v_fmac_f32_e32 v15, 0xbf5db3d7, v13
	v_dual_add_f32 v13, v36, v21 :: v_dual_fmac_f32 v12, 0x3f5db3d7, v22
	v_fma_f32 v13, -0.5, v13, v17
	v_add_f32_e32 v17, v25, v21
	v_dual_add_f32 v25, v18, v39 :: v_dual_add_f32 v22, v39, v33
	s_delay_alu instid0(VALU_DEP_3) | instskip(SKIP_1) | instid1(VALU_DEP_3)
	v_fmamk_f32 v21, v28, 0x3f5db3d7, v13
	v_dual_fmac_f32 v13, 0xbf5db3d7, v28 :: v_dual_add_f32 v28, v24, v23
	v_fma_f32 v18, -0.5, v22, v18
	s_delay_alu instid0(VALU_DEP_4) | instskip(NEXT) | instid1(VALU_DEP_3)
	v_dual_add_f32 v22, v25, v33 :: v_dual_add_f32 v25, v19, v24
	v_dual_fmac_f32 v19, -0.5, v28 :: v_dual_sub_f32 v28, v39, v33
	v_add_f32_e32 v33, v1, v26
	s_delay_alu instid0(VALU_DEP_3) | instskip(NEXT) | instid1(VALU_DEP_3)
	v_dual_add_f32 v23, v25, v23 :: v_dual_fmamk_f32 v24, v30, 0xbf5db3d7, v18
	v_dual_fmac_f32 v18, 0x3f5db3d7, v30 :: v_dual_fmamk_f32 v25, v28, 0x3f5db3d7, v19
	v_dual_add_f32 v30, v32, v29 :: v_dual_fmac_f32 v19, 0xbf5db3d7, v28
	v_add_f32_e32 v28, v26, v27
	v_sub_f32_e32 v32, v32, v29
	s_delay_alu instid0(VALU_DEP_3) | instskip(NEXT) | instid1(VALU_DEP_3)
	v_fma_f32 v0, -0.5, v30, v0
	v_dual_sub_f32 v30, v26, v27 :: v_dual_fmac_f32 v1, -0.5, v28
	v_dual_add_f32 v27, v33, v27 :: v_dual_add_f32 v26, v31, v29
	s_delay_alu instid0(VALU_DEP_2) | instskip(NEXT) | instid1(VALU_DEP_3)
	v_fmamk_f32 v28, v30, 0xbf5db3d7, v0
	v_dual_fmac_f32 v0, 0x3f5db3d7, v30 :: v_dual_fmamk_f32 v29, v32, 0x3f5db3d7, v1
	v_fmac_f32_e32 v1, 0xbf5db3d7, v32
	ds_store_b64 v107, v[4:5]
	ds_store_2addr_b64 v112, v[6:7], v[10:11] offset0:55 offset1:66
	ds_store_2addr_b64 v112, v[2:3], v[14:15] offset0:110 offset1:121
	;; [unrolled: 1-line block ×4, first 2 shown]
	ds_store_b64 v112, v[22:23] offset:264
	ds_store_2addr_b64 v55, v[24:25], v[18:19] offset0:55 offset1:110
	ds_store_b64 v112, v[26:27] offset:352
	ds_store_2addr_b64 v54, v[28:29], v[0:1] offset0:55 offset1:110
	global_wb scope:SCOPE_SE
	s_wait_dscnt 0x0
	s_barrier_signal -1
	s_barrier_wait -1
	global_inv scope:SCOPE_SE
	ds_load_2addr_b64 v[0:3], v107 offset1:15
	v_mad_co_u64_u32 v[16:17], null, s6, v80, 0
	v_mad_co_u64_u32 v[22:23], null, s4, v109, 0
	s_wait_dscnt 0x0
	v_mul_f32_e32 v5, v102, v0
	v_mul_f32_e32 v4, v102, v1
	s_delay_alu instid0(VALU_DEP_2) | instskip(NEXT) | instid1(VALU_DEP_2)
	v_fma_f32 v5, v101, v1, -v5
	v_fmac_f32_e32 v4, v101, v0
	s_delay_alu instid0(VALU_DEP_2) | instskip(NEXT) | instid1(VALU_DEP_2)
	v_cvt_f64_f32_e32 v[8:9], v5
	v_cvt_f64_f32_e32 v[0:1], v4
	ds_load_2addr_b64 v[4:7], v107 offset0:30 offset1:45
	s_wait_dscnt 0x0
	v_mul_f32_e32 v13, v86, v7
	s_delay_alu instid0(VALU_DEP_1) | instskip(SKIP_1) | instid1(VALU_DEP_2)
	v_fmac_f32_e32 v13, v85, v6
	v_mul_f32_e32 v6, v86, v6
	v_cvt_f64_f32_e32 v[30:31], v13
	s_wait_alu 0xfffe
	v_mul_f64_e32 v[20:21], s[2:3], v[8:9]
	ds_load_2addr_b64 v[8:11], v107 offset0:60 offset1:75
	v_mul_f64_e32 v[18:19], s[2:3], v[0:1]
	v_mul_f32_e32 v0, v98, v3
	v_dual_mul_f32 v1, v98, v2 :: v_dual_mul_f32 v12, v100, v5
	s_delay_alu instid0(VALU_DEP_1)
	v_fma_f32 v1, v97, v3, -v1
	s_wait_dscnt 0x0
	v_mul_f32_e32 v33, v90, v8
	v_mul_f32_e32 v35, v92, v10
	v_fmac_f32_e32 v0, v97, v2
	v_mul_f32_e32 v2, v100, v4
	v_fmac_f32_e32 v12, v99, v4
	v_mul_f32_e32 v32, v90, v9
	v_fma_f32 v33, v89, v9, -v33
	v_cvt_f64_f32_e32 v[24:25], v0
	v_fma_f32 v14, v99, v5, -v2
	v_cvt_f64_f32_e32 v[4:5], v1
	ds_load_2addr_b64 v[0:3], v107 offset0:90 offset1:105
	v_mul_f32_e32 v34, v92, v11
	v_fma_f32 v36, v91, v11, -v35
	v_cvt_f64_f32_e32 v[28:29], v14
	s_delay_alu instid0(VALU_DEP_2)
	v_cvt_f64_f32_e32 v[36:37], v36
	s_wait_dscnt 0x0
	v_mul_f32_e32 v39, v82, v0
	v_mul_f32_e32 v41, v84, v2
	v_cvt_f64_f32_e32 v[26:27], v12
	ds_load_2addr_b64 v[12:15], v107 offset0:120 offset1:135
	v_mul_f32_e32 v40, v84, v3
	v_fma_f32 v39, v81, v1, -v39
	s_delay_alu instid0(VALU_DEP_2) | instskip(SKIP_1) | instid1(VALU_DEP_2)
	v_fmac_f32_e32 v40, v83, v2
	v_fma_f32 v2, v83, v3, -v41
	v_cvt_f64_f32_e32 v[40:41], v40
	s_delay_alu instid0(VALU_DEP_2)
	v_cvt_f64_f32_e32 v[42:43], v2
	v_mul_f64_e32 v[24:25], s[2:3], v[24:25]
	v_mul_f64_e32 v[4:5], s[2:3], v[4:5]
	;; [unrolled: 1-line block ×3, first 2 shown]
	s_wait_dscnt 0x0
	v_mul_f32_e32 v44, v88, v13
	v_dual_mul_f32 v2, v88, v12 :: v_dual_mul_f32 v3, v94, v15
	v_mul_f32_e32 v38, v82, v1
	s_delay_alu instid0(VALU_DEP_3) | instskip(SKIP_1) | instid1(VALU_DEP_4)
	v_fmac_f32_e32 v44, v87, v12
	v_mul_f32_e32 v12, v94, v14
	v_fmac_f32_e32 v3, v93, v14
	v_fma_f32 v2, v87, v13, -v2
	v_fmac_f32_e32 v38, v81, v0
	v_cvt_f64_f32_e32 v[44:45], v44
	v_fma_f32 v48, v93, v15, -v12
	v_cvt_f64_f32_e32 v[14:15], v3
	v_cvt_f64_f32_e32 v[12:13], v2
	v_mad_co_u64_u32 v[2:3], null, s7, v80, v[17:18]
	v_dual_mov_b32 v3, v23 :: v_dual_fmac_f32 v32, v89, v8
	v_fma_f32 v6, v85, v7, -v6
	v_cvt_f64_f32_e32 v[0:1], v38
	v_cvt_f64_f32_e32 v[38:39], v39
	v_mul_f64_e32 v[26:27], s[2:3], v[26:27]
	v_mov_b32_e32 v17, v2
	v_cvt_f64_f32_e32 v[8:9], v32
	v_cvt_f64_f32_e32 v[6:7], v6
	v_cvt_f32_f64_e32 v18, v[18:19]
	v_cvt_f32_f64_e32 v19, v[20:21]
	;; [unrolled: 1-line block ×3, first 2 shown]
	v_mad_co_u64_u32 v[50:51], null, s5, v109, v[3:4]
	v_fmac_f32_e32 v34, v91, v10
	v_cvt_f64_f32_e32 v[10:11], v33
	v_lshlrev_b64_e32 v[2:3], 3, v[16:17]
	v_mul_f64_e32 v[16:17], s[2:3], v[30:31]
	v_mul_f64_e32 v[30:31], s[2:3], v[36:37]
	;; [unrolled: 1-line block ×3, first 2 shown]
	v_mov_b32_e32 v23, v50
	v_cvt_f64_f32_e32 v[32:33], v34
	ds_load_b64 v[34:35], v107 offset:1200
	v_cvt_f32_f64_e32 v25, v[4:5]
	v_add_co_u32 v2, s0, s10, v2
	v_lshlrev_b64_e32 v[20:21], 3, v[22:23]
	s_wait_alu 0xf1ff
	v_add_co_ci_u32_e64 v3, s0, s11, v3, s0
	v_mul_f64_e32 v[40:41], s[2:3], v[44:45]
	v_mul_f64_e32 v[14:15], s[2:3], v[14:15]
	;; [unrolled: 1-line block ×3, first 2 shown]
	v_add_co_u32 v20, s0, v2, v20
	s_wait_alu 0xf1ff
	v_add_co_ci_u32_e64 v21, s0, v3, v21, s0
	s_mul_u64 s[0:1], s[4:5], 15
	v_mul_f64_e32 v[0:1], s[2:3], v[0:1]
	s_wait_alu 0xfffe
	s_lshl_b64 s[6:7], s[0:1], 3
	v_cvt_f32_f64_e32 v26, v[26:27]
	v_cvt_f32_f64_e32 v27, v[28:29]
	v_mul_f64_e32 v[8:9], s[2:3], v[8:9]
	s_wait_dscnt 0x0
	v_mul_f32_e32 v46, v96, v35
	v_mul_f32_e32 v47, v96, v34
	v_mul_f64_e32 v[6:7], s[2:3], v[6:7]
	s_wait_alu 0xfffe
	v_add_co_u32 v4, s0, v20, s6
	v_fmac_f32_e32 v46, v95, v34
	v_fma_f32 v49, v95, v35, -v47
	v_cvt_f64_f32_e32 v[34:35], v48
	s_wait_alu 0xf1ff
	v_add_co_ci_u32_e64 v5, s0, s7, v21, s0
	v_cvt_f64_f32_e32 v[46:47], v46
	v_cvt_f64_f32_e32 v[48:49], v49
	v_mul_f64_e32 v[10:11], s[2:3], v[10:11]
	v_cvt_f32_f64_e32 v16, v[16:17]
	v_add_co_u32 v28, s0, v4, s6
	s_wait_alu 0xf1ff
	v_add_co_ci_u32_e64 v29, s0, s7, v5, s0
	v_mul_f64_e32 v[22:23], s[2:3], v[32:33]
	v_mul_f64_e32 v[32:33], s[2:3], v[38:39]
	;; [unrolled: 1-line block ×3, first 2 shown]
	s_clause 0x2
	global_store_b64 v[20:21], v[18:19], off
	global_store_b64 v[4:5], v[24:25], off
	;; [unrolled: 1-line block ×3, first 2 shown]
	v_cvt_f32_f64_e32 v17, v[6:7]
	v_cvt_f32_f64_e32 v6, v[8:9]
	v_add_co_u32 v8, s0, v28, s6
	s_wait_alu 0xf1ff
	v_add_co_ci_u32_e64 v9, s0, s7, v29, s0
	v_mul_f64_e32 v[34:35], s[2:3], v[34:35]
	v_mul_f64_e32 v[42:43], s[2:3], v[46:47]
	;; [unrolled: 1-line block ×3, first 2 shown]
	v_cvt_f32_f64_e32 v7, v[10:11]
	v_cvt_f32_f64_e32 v11, v[30:31]
	;; [unrolled: 1-line block ×7, first 2 shown]
	v_add_co_u32 v0, s0, v8, s6
	v_cvt_f32_f64_e32 v32, v[40:41]
	v_cvt_f32_f64_e32 v33, v[12:13]
	;; [unrolled: 1-line block ×3, first 2 shown]
	s_wait_alu 0xf1ff
	v_add_co_ci_u32_e64 v1, s0, s7, v9, s0
	v_add_co_u32 v18, s0, v0, s6
	s_wait_alu 0xf1ff
	s_delay_alu instid0(VALU_DEP_2) | instskip(NEXT) | instid1(VALU_DEP_2)
	v_add_co_ci_u32_e64 v19, s0, s7, v1, s0
	v_add_co_u32 v4, s0, v18, s6
	s_wait_alu 0xf1ff
	s_delay_alu instid0(VALU_DEP_2) | instskip(NEXT) | instid1(VALU_DEP_2)
	v_add_co_ci_u32_e64 v5, s0, s7, v19, s0
	v_add_co_u32 v20, s0, v4, s6
	global_store_b64 v[8:9], v[16:17], off
	s_wait_alu 0xf1ff
	v_add_co_ci_u32_e64 v21, s0, s7, v5, s0
	v_add_co_u32 v8, s0, v20, s6
	v_cvt_f32_f64_e32 v13, v[34:35]
	s_wait_alu 0xf1ff
	s_delay_alu instid0(VALU_DEP_3)
	v_add_co_ci_u32_e64 v9, s0, s7, v21, s0
	v_cvt_f32_f64_e32 v14, v[42:43]
	v_cvt_f32_f64_e32 v15, v[44:45]
	global_store_b64 v[0:1], v[6:7], off
	v_add_co_u32 v6, s0, v8, s6
	s_wait_alu 0xf1ff
	v_add_co_ci_u32_e64 v7, s0, s7, v9, s0
	global_store_b64 v[18:19], v[10:11], off
	v_add_co_u32 v0, s0, v6, s6
	s_wait_alu 0xf1ff
	v_add_co_ci_u32_e64 v1, s0, s7, v7, s0
	global_store_b64 v[4:5], v[22:23], off
	global_store_b64 v[20:21], v[30:31], off
	;; [unrolled: 1-line block ×5, first 2 shown]
	s_and_b32 exec_lo, exec_lo, vcc_lo
	s_cbranch_execz .LBB0_15
; %bb.14:
	global_load_b64 v[4:5], v[78:79], off offset:88
	ds_load_b64 v[6:7], v112 offset:88
	v_mad_co_u64_u32 v[0:1], null, 0xfffffba8, s4, v[0:1]
	s_mul_i32 s0, s5, 0xfffffba8
	s_wait_alu 0xfffe
	s_sub_co_i32 s0, s0, s4
	s_wait_alu 0xfffe
	s_delay_alu instid0(VALU_DEP_1) | instskip(SKIP_4) | instid1(VALU_DEP_2)
	v_add_nc_u32_e32 v1, s0, v1
	s_mul_i32 s0, s5, 0xf0
	s_wait_loadcnt_dscnt 0x0
	v_mul_f32_e32 v8, v7, v5
	v_mul_f32_e32 v5, v6, v5
	v_fmac_f32_e32 v8, v6, v4
	s_delay_alu instid0(VALU_DEP_2) | instskip(NEXT) | instid1(VALU_DEP_2)
	v_fma_f32 v6, v4, v7, -v5
	v_cvt_f64_f32_e32 v[4:5], v8
	s_delay_alu instid0(VALU_DEP_2) | instskip(NEXT) | instid1(VALU_DEP_2)
	v_cvt_f64_f32_e32 v[6:7], v6
	v_mul_f64_e32 v[4:5], s[2:3], v[4:5]
	s_delay_alu instid0(VALU_DEP_2) | instskip(NEXT) | instid1(VALU_DEP_2)
	v_mul_f64_e32 v[6:7], s[2:3], v[6:7]
	v_cvt_f32_f64_e32 v4, v[4:5]
	s_delay_alu instid0(VALU_DEP_2)
	v_cvt_f32_f64_e32 v5, v[6:7]
	global_store_b64 v[0:1], v[4:5], off
	global_load_b64 v[8:9], v[78:79], off offset:208
	ds_load_2addr_b64 v[4:7], v107 offset0:26 offset1:41
	v_add_co_u32 v0, vcc_lo, v0, s6
	s_wait_alu 0xfffd
	v_add_co_ci_u32_e32 v1, vcc_lo, s7, v1, vcc_lo
	s_wait_loadcnt_dscnt 0x0
	v_mul_f32_e32 v10, v5, v9
	v_mul_f32_e32 v9, v4, v9
	s_delay_alu instid0(VALU_DEP_2) | instskip(NEXT) | instid1(VALU_DEP_2)
	v_fmac_f32_e32 v10, v4, v8
	v_fma_f32 v8, v8, v5, -v9
	s_delay_alu instid0(VALU_DEP_2) | instskip(NEXT) | instid1(VALU_DEP_2)
	v_cvt_f64_f32_e32 v[4:5], v10
	v_cvt_f64_f32_e32 v[8:9], v8
	s_delay_alu instid0(VALU_DEP_2) | instskip(NEXT) | instid1(VALU_DEP_2)
	v_mul_f64_e32 v[4:5], s[2:3], v[4:5]
	v_mul_f64_e32 v[8:9], s[2:3], v[8:9]
	s_delay_alu instid0(VALU_DEP_2) | instskip(NEXT) | instid1(VALU_DEP_2)
	v_cvt_f32_f64_e32 v4, v[4:5]
	v_cvt_f32_f64_e32 v5, v[8:9]
	global_store_b64 v[0:1], v[4:5], off
	global_load_b64 v[4:5], v[78:79], off offset:328
	v_add_co_u32 v0, vcc_lo, v0, s6
	s_wait_alu 0xfffd
	v_add_co_ci_u32_e32 v1, vcc_lo, s7, v1, vcc_lo
	s_wait_loadcnt 0x0
	v_mul_f32_e32 v8, v7, v5
	v_mul_f32_e32 v5, v6, v5
	s_delay_alu instid0(VALU_DEP_2) | instskip(NEXT) | instid1(VALU_DEP_2)
	v_fmac_f32_e32 v8, v6, v4
	v_fma_f32 v6, v4, v7, -v5
	s_delay_alu instid0(VALU_DEP_2) | instskip(NEXT) | instid1(VALU_DEP_2)
	v_cvt_f64_f32_e32 v[4:5], v8
	v_cvt_f64_f32_e32 v[6:7], v6
	s_delay_alu instid0(VALU_DEP_2) | instskip(NEXT) | instid1(VALU_DEP_2)
	v_mul_f64_e32 v[4:5], s[2:3], v[4:5]
	v_mul_f64_e32 v[6:7], s[2:3], v[6:7]
	s_delay_alu instid0(VALU_DEP_2) | instskip(NEXT) | instid1(VALU_DEP_2)
	v_cvt_f32_f64_e32 v4, v[4:5]
	v_cvt_f32_f64_e32 v5, v[6:7]
	global_store_b64 v[0:1], v[4:5], off
	global_load_b64 v[8:9], v[78:79], off offset:448
	ds_load_2addr_b64 v[4:7], v107 offset0:56 offset1:71
	v_mad_co_u64_u32 v[0:1], null, 0xf0, s4, v[0:1]
	s_wait_alu 0xfffe
	s_delay_alu instid0(VALU_DEP_1) | instskip(SKIP_3) | instid1(VALU_DEP_2)
	v_add_nc_u32_e32 v1, s0, v1
	s_wait_loadcnt_dscnt 0x0
	v_mul_f32_e32 v10, v5, v9
	v_mul_f32_e32 v9, v4, v9
	v_fmac_f32_e32 v10, v4, v8
	s_delay_alu instid0(VALU_DEP_2) | instskip(NEXT) | instid1(VALU_DEP_2)
	v_fma_f32 v8, v8, v5, -v9
	v_cvt_f64_f32_e32 v[4:5], v10
	s_delay_alu instid0(VALU_DEP_2) | instskip(SKIP_1) | instid1(VALU_DEP_3)
	v_cvt_f64_f32_e32 v[8:9], v8
	v_mad_co_u64_u32 v[10:11], null, s4, v110, 0
	v_mul_f64_e32 v[4:5], s[2:3], v[4:5]
	s_delay_alu instid0(VALU_DEP_3) | instskip(NEXT) | instid1(VALU_DEP_2)
	v_mul_f64_e32 v[8:9], s[2:3], v[8:9]
	v_cvt_f32_f64_e32 v4, v[4:5]
	s_delay_alu instid0(VALU_DEP_2) | instskip(SKIP_1) | instid1(VALU_DEP_1)
	v_cvt_f32_f64_e32 v5, v[8:9]
	v_mov_b32_e32 v8, v11
	v_mad_co_u64_u32 v[8:9], null, s5, v110, v[8:9]
	s_delay_alu instid0(VALU_DEP_1) | instskip(NEXT) | instid1(VALU_DEP_1)
	v_mov_b32_e32 v11, v8
	v_lshlrev_b64_e32 v[8:9], 3, v[10:11]
	s_delay_alu instid0(VALU_DEP_1) | instskip(SKIP_1) | instid1(VALU_DEP_2)
	v_add_co_u32 v8, vcc_lo, v2, v8
	s_wait_alu 0xfffd
	v_add_co_ci_u32_e32 v9, vcc_lo, v3, v9, vcc_lo
	global_store_b64 v[8:9], v[4:5], off
	global_load_b64 v[4:5], v[78:79], off offset:568
	s_wait_loadcnt 0x0
	v_mul_f32_e32 v8, v7, v5
	v_mul_f32_e32 v5, v6, v5
	s_delay_alu instid0(VALU_DEP_2) | instskip(NEXT) | instid1(VALU_DEP_2)
	v_fmac_f32_e32 v8, v6, v4
	v_fma_f32 v6, v4, v7, -v5
	s_delay_alu instid0(VALU_DEP_2) | instskip(NEXT) | instid1(VALU_DEP_2)
	v_cvt_f64_f32_e32 v[4:5], v8
	v_cvt_f64_f32_e32 v[6:7], v6
	s_delay_alu instid0(VALU_DEP_2) | instskip(NEXT) | instid1(VALU_DEP_2)
	v_mul_f64_e32 v[4:5], s[2:3], v[4:5]
	v_mul_f64_e32 v[6:7], s[2:3], v[6:7]
	s_delay_alu instid0(VALU_DEP_2) | instskip(NEXT) | instid1(VALU_DEP_2)
	v_cvt_f32_f64_e32 v4, v[4:5]
	v_cvt_f32_f64_e32 v5, v[6:7]
	global_store_b64 v[0:1], v[4:5], off
	global_load_b64 v[8:9], v[78:79], off offset:688
	ds_load_2addr_b64 v[4:7], v107 offset0:86 offset1:101
	v_add_co_u32 v0, vcc_lo, v0, s6
	s_wait_alu 0xfffd
	v_add_co_ci_u32_e32 v1, vcc_lo, s7, v1, vcc_lo
	s_wait_loadcnt_dscnt 0x0
	v_mul_f32_e32 v10, v5, v9
	v_mul_f32_e32 v9, v4, v9
	s_delay_alu instid0(VALU_DEP_2) | instskip(NEXT) | instid1(VALU_DEP_2)
	v_fmac_f32_e32 v10, v4, v8
	v_fma_f32 v8, v8, v5, -v9
	s_delay_alu instid0(VALU_DEP_2) | instskip(NEXT) | instid1(VALU_DEP_2)
	v_cvt_f64_f32_e32 v[4:5], v10
	v_cvt_f64_f32_e32 v[8:9], v8
	s_delay_alu instid0(VALU_DEP_2) | instskip(NEXT) | instid1(VALU_DEP_2)
	v_mul_f64_e32 v[4:5], s[2:3], v[4:5]
	v_mul_f64_e32 v[8:9], s[2:3], v[8:9]
	s_delay_alu instid0(VALU_DEP_2) | instskip(NEXT) | instid1(VALU_DEP_2)
	v_cvt_f32_f64_e32 v4, v[4:5]
	v_cvt_f32_f64_e32 v5, v[8:9]
	global_store_b64 v[0:1], v[4:5], off
	global_load_b64 v[4:5], v[78:79], off offset:808
	v_add_co_u32 v0, vcc_lo, v0, s6
	s_wait_alu 0xfffd
	v_add_co_ci_u32_e32 v1, vcc_lo, s7, v1, vcc_lo
	s_wait_loadcnt 0x0
	v_mul_f32_e32 v8, v7, v5
	v_mul_f32_e32 v5, v6, v5
	s_delay_alu instid0(VALU_DEP_2) | instskip(NEXT) | instid1(VALU_DEP_2)
	v_fmac_f32_e32 v8, v6, v4
	v_fma_f32 v6, v4, v7, -v5
	s_delay_alu instid0(VALU_DEP_2) | instskip(NEXT) | instid1(VALU_DEP_2)
	v_cvt_f64_f32_e32 v[4:5], v8
	v_cvt_f64_f32_e32 v[6:7], v6
	s_delay_alu instid0(VALU_DEP_2) | instskip(NEXT) | instid1(VALU_DEP_2)
	v_mul_f64_e32 v[4:5], s[2:3], v[4:5]
	v_mul_f64_e32 v[6:7], s[2:3], v[6:7]
	s_delay_alu instid0(VALU_DEP_2) | instskip(NEXT) | instid1(VALU_DEP_2)
	v_cvt_f32_f64_e32 v4, v[4:5]
	v_cvt_f32_f64_e32 v5, v[6:7]
	global_store_b64 v[0:1], v[4:5], off
	global_load_b64 v[8:9], v[78:79], off offset:928
	ds_load_2addr_b64 v[4:7], v107 offset0:116 offset1:131
	s_wait_loadcnt_dscnt 0x0
	v_mul_f32_e32 v10, v5, v9
	v_mul_f32_e32 v9, v4, v9
	s_delay_alu instid0(VALU_DEP_2) | instskip(NEXT) | instid1(VALU_DEP_2)
	v_fmac_f32_e32 v10, v4, v8
	v_fma_f32 v8, v8, v5, -v9
	s_delay_alu instid0(VALU_DEP_2) | instskip(NEXT) | instid1(VALU_DEP_2)
	v_cvt_f64_f32_e32 v[4:5], v10
	v_cvt_f64_f32_e32 v[8:9], v8
	v_mad_co_u64_u32 v[10:11], null, s4, v108, 0
	s_delay_alu instid0(VALU_DEP_3) | instskip(NEXT) | instid1(VALU_DEP_3)
	v_mul_f64_e32 v[4:5], s[2:3], v[4:5]
	v_mul_f64_e32 v[8:9], s[2:3], v[8:9]
	s_delay_alu instid0(VALU_DEP_2) | instskip(NEXT) | instid1(VALU_DEP_2)
	v_cvt_f32_f64_e32 v4, v[4:5]
	v_cvt_f32_f64_e32 v5, v[8:9]
	v_mov_b32_e32 v8, v11
	s_delay_alu instid0(VALU_DEP_1) | instskip(NEXT) | instid1(VALU_DEP_1)
	v_mad_co_u64_u32 v[8:9], null, s5, v108, v[8:9]
	v_mov_b32_e32 v11, v8
	s_delay_alu instid0(VALU_DEP_1) | instskip(NEXT) | instid1(VALU_DEP_1)
	v_lshlrev_b64_e32 v[8:9], 3, v[10:11]
	v_add_co_u32 v2, vcc_lo, v2, v8
	s_wait_alu 0xfffd
	s_delay_alu instid0(VALU_DEP_2)
	v_add_co_ci_u32_e32 v3, vcc_lo, v3, v9, vcc_lo
	global_store_b64 v[2:3], v[4:5], off
	global_load_b64 v[2:3], v[78:79], off offset:1048
	s_wait_loadcnt 0x0
	v_mul_f32_e32 v4, v7, v3
	v_mul_f32_e32 v3, v6, v3
	s_delay_alu instid0(VALU_DEP_2) | instskip(NEXT) | instid1(VALU_DEP_2)
	v_fmac_f32_e32 v4, v6, v2
	v_fma_f32 v5, v2, v7, -v3
	s_delay_alu instid0(VALU_DEP_2) | instskip(NEXT) | instid1(VALU_DEP_2)
	v_cvt_f64_f32_e32 v[2:3], v4
	v_cvt_f64_f32_e32 v[4:5], v5
	s_delay_alu instid0(VALU_DEP_2) | instskip(NEXT) | instid1(VALU_DEP_2)
	v_mul_f64_e32 v[2:3], s[2:3], v[2:3]
	v_mul_f64_e32 v[4:5], s[2:3], v[4:5]
	s_delay_alu instid0(VALU_DEP_2) | instskip(NEXT) | instid1(VALU_DEP_2)
	v_cvt_f32_f64_e32 v2, v[2:3]
	v_cvt_f32_f64_e32 v3, v[4:5]
	v_mad_co_u64_u32 v[4:5], null, 0xf0, s4, v[0:1]
	s_delay_alu instid0(VALU_DEP_1)
	v_add_nc_u32_e32 v5, s0, v5
	global_store_b64 v[4:5], v[2:3], off
	global_load_b64 v[6:7], v[78:79], off offset:1168
	ds_load_2addr_b64 v[0:3], v107 offset0:146 offset1:161
	v_add_co_u32 v4, vcc_lo, v4, s6
	s_wait_alu 0xfffd
	v_add_co_ci_u32_e32 v5, vcc_lo, s7, v5, vcc_lo
	s_wait_loadcnt_dscnt 0x0
	v_mul_f32_e32 v8, v1, v7
	v_mul_f32_e32 v7, v0, v7
	s_delay_alu instid0(VALU_DEP_2) | instskip(NEXT) | instid1(VALU_DEP_2)
	v_fmac_f32_e32 v8, v0, v6
	v_fma_f32 v6, v6, v1, -v7
	s_delay_alu instid0(VALU_DEP_2) | instskip(NEXT) | instid1(VALU_DEP_2)
	v_cvt_f64_f32_e32 v[0:1], v8
	v_cvt_f64_f32_e32 v[6:7], v6
	s_delay_alu instid0(VALU_DEP_2) | instskip(NEXT) | instid1(VALU_DEP_2)
	v_mul_f64_e32 v[0:1], s[2:3], v[0:1]
	v_mul_f64_e32 v[6:7], s[2:3], v[6:7]
	s_delay_alu instid0(VALU_DEP_2) | instskip(NEXT) | instid1(VALU_DEP_2)
	v_cvt_f32_f64_e32 v0, v[0:1]
	v_cvt_f32_f64_e32 v1, v[6:7]
	global_store_b64 v[4:5], v[0:1], off
	global_load_b64 v[0:1], v[78:79], off offset:1288
	s_wait_loadcnt 0x0
	v_mul_f32_e32 v6, v3, v1
	v_mul_f32_e32 v1, v2, v1
	s_delay_alu instid0(VALU_DEP_2) | instskip(NEXT) | instid1(VALU_DEP_2)
	v_fmac_f32_e32 v6, v2, v0
	v_fma_f32 v2, v0, v3, -v1
	s_delay_alu instid0(VALU_DEP_2) | instskip(NEXT) | instid1(VALU_DEP_2)
	v_cvt_f64_f32_e32 v[0:1], v6
	v_cvt_f64_f32_e32 v[2:3], v2
	s_delay_alu instid0(VALU_DEP_2) | instskip(NEXT) | instid1(VALU_DEP_2)
	v_mul_f64_e32 v[0:1], s[2:3], v[0:1]
	v_mul_f64_e32 v[2:3], s[2:3], v[2:3]
	s_delay_alu instid0(VALU_DEP_2) | instskip(NEXT) | instid1(VALU_DEP_2)
	v_cvt_f32_f64_e32 v0, v[0:1]
	v_cvt_f32_f64_e32 v1, v[2:3]
	v_add_co_u32 v2, vcc_lo, v4, s6
	s_wait_alu 0xfffd
	v_add_co_ci_u32_e32 v3, vcc_lo, s7, v5, vcc_lo
	global_store_b64 v[2:3], v[0:1], off
.LBB0_15:
	s_nop 0
	s_sendmsg sendmsg(MSG_DEALLOC_VGPRS)
	s_endpgm
	.section	.rodata,"a",@progbits
	.p2align	6, 0x0
	.amdhsa_kernel bluestein_single_back_len165_dim1_sp_op_CI_CI
		.amdhsa_group_segment_fixed_size 6600
		.amdhsa_private_segment_fixed_size 0
		.amdhsa_kernarg_size 104
		.amdhsa_user_sgpr_count 2
		.amdhsa_user_sgpr_dispatch_ptr 0
		.amdhsa_user_sgpr_queue_ptr 0
		.amdhsa_user_sgpr_kernarg_segment_ptr 1
		.amdhsa_user_sgpr_dispatch_id 0
		.amdhsa_user_sgpr_private_segment_size 0
		.amdhsa_wavefront_size32 1
		.amdhsa_uses_dynamic_stack 0
		.amdhsa_enable_private_segment 0
		.amdhsa_system_sgpr_workgroup_id_x 1
		.amdhsa_system_sgpr_workgroup_id_y 0
		.amdhsa_system_sgpr_workgroup_id_z 0
		.amdhsa_system_sgpr_workgroup_info 0
		.amdhsa_system_vgpr_workitem_id 0
		.amdhsa_next_free_vgpr 169
		.amdhsa_next_free_sgpr 16
		.amdhsa_reserve_vcc 1
		.amdhsa_float_round_mode_32 0
		.amdhsa_float_round_mode_16_64 0
		.amdhsa_float_denorm_mode_32 3
		.amdhsa_float_denorm_mode_16_64 3
		.amdhsa_fp16_overflow 0
		.amdhsa_workgroup_processor_mode 1
		.amdhsa_memory_ordered 1
		.amdhsa_forward_progress 0
		.amdhsa_round_robin_scheduling 0
		.amdhsa_exception_fp_ieee_invalid_op 0
		.amdhsa_exception_fp_denorm_src 0
		.amdhsa_exception_fp_ieee_div_zero 0
		.amdhsa_exception_fp_ieee_overflow 0
		.amdhsa_exception_fp_ieee_underflow 0
		.amdhsa_exception_fp_ieee_inexact 0
		.amdhsa_exception_int_div_zero 0
	.end_amdhsa_kernel
	.text
.Lfunc_end0:
	.size	bluestein_single_back_len165_dim1_sp_op_CI_CI, .Lfunc_end0-bluestein_single_back_len165_dim1_sp_op_CI_CI
                                        ; -- End function
	.section	.AMDGPU.csdata,"",@progbits
; Kernel info:
; codeLenInByte = 19588
; NumSgprs: 18
; NumVgprs: 169
; ScratchSize: 0
; MemoryBound: 0
; FloatMode: 240
; IeeeMode: 1
; LDSByteSize: 6600 bytes/workgroup (compile time only)
; SGPRBlocks: 2
; VGPRBlocks: 21
; NumSGPRsForWavesPerEU: 18
; NumVGPRsForWavesPerEU: 169
; Occupancy: 8
; WaveLimiterHint : 1
; COMPUTE_PGM_RSRC2:SCRATCH_EN: 0
; COMPUTE_PGM_RSRC2:USER_SGPR: 2
; COMPUTE_PGM_RSRC2:TRAP_HANDLER: 0
; COMPUTE_PGM_RSRC2:TGID_X_EN: 1
; COMPUTE_PGM_RSRC2:TGID_Y_EN: 0
; COMPUTE_PGM_RSRC2:TGID_Z_EN: 0
; COMPUTE_PGM_RSRC2:TIDIG_COMP_CNT: 0
	.text
	.p2alignl 7, 3214868480
	.fill 96, 4, 3214868480
	.type	__hip_cuid_88161196520c9e9d,@object ; @__hip_cuid_88161196520c9e9d
	.section	.bss,"aw",@nobits
	.globl	__hip_cuid_88161196520c9e9d
__hip_cuid_88161196520c9e9d:
	.byte	0                               ; 0x0
	.size	__hip_cuid_88161196520c9e9d, 1

	.ident	"AMD clang version 19.0.0git (https://github.com/RadeonOpenCompute/llvm-project roc-6.4.0 25133 c7fe45cf4b819c5991fe208aaa96edf142730f1d)"
	.section	".note.GNU-stack","",@progbits
	.addrsig
	.addrsig_sym __hip_cuid_88161196520c9e9d
	.amdgpu_metadata
---
amdhsa.kernels:
  - .args:
      - .actual_access:  read_only
        .address_space:  global
        .offset:         0
        .size:           8
        .value_kind:     global_buffer
      - .actual_access:  read_only
        .address_space:  global
        .offset:         8
        .size:           8
        .value_kind:     global_buffer
      - .actual_access:  read_only
        .address_space:  global
        .offset:         16
        .size:           8
        .value_kind:     global_buffer
      - .actual_access:  read_only
        .address_space:  global
        .offset:         24
        .size:           8
        .value_kind:     global_buffer
      - .actual_access:  read_only
        .address_space:  global
        .offset:         32
        .size:           8
        .value_kind:     global_buffer
      - .offset:         40
        .size:           8
        .value_kind:     by_value
      - .address_space:  global
        .offset:         48
        .size:           8
        .value_kind:     global_buffer
      - .address_space:  global
        .offset:         56
        .size:           8
        .value_kind:     global_buffer
      - .address_space:  global
        .offset:         64
        .size:           8
        .value_kind:     global_buffer
      - .address_space:  global
        .offset:         72
        .size:           8
        .value_kind:     global_buffer
      - .offset:         80
        .size:           4
        .value_kind:     by_value
      - .address_space:  global
        .offset:         88
        .size:           8
        .value_kind:     global_buffer
      - .address_space:  global
        .offset:         96
        .size:           8
        .value_kind:     global_buffer
    .group_segment_fixed_size: 6600
    .kernarg_segment_align: 8
    .kernarg_segment_size: 104
    .language:       OpenCL C
    .language_version:
      - 2
      - 0
    .max_flat_workgroup_size: 55
    .name:           bluestein_single_back_len165_dim1_sp_op_CI_CI
    .private_segment_fixed_size: 0
    .sgpr_count:     18
    .sgpr_spill_count: 0
    .symbol:         bluestein_single_back_len165_dim1_sp_op_CI_CI.kd
    .uniform_work_group_size: 1
    .uses_dynamic_stack: false
    .vgpr_count:     169
    .vgpr_spill_count: 0
    .wavefront_size: 32
    .workgroup_processor_mode: 1
amdhsa.target:   amdgcn-amd-amdhsa--gfx1201
amdhsa.version:
  - 1
  - 2
...

	.end_amdgpu_metadata
